;; amdgpu-corpus repo=ROCm/rocFFT kind=compiled arch=gfx906 opt=O3
	.text
	.amdgcn_target "amdgcn-amd-amdhsa--gfx906"
	.amdhsa_code_object_version 6
	.protected	fft_rtc_fwd_len1326_factors_17_6_13_wgs_204_tpt_102_halfLds_dp_ip_CI_sbrr_dirReg ; -- Begin function fft_rtc_fwd_len1326_factors_17_6_13_wgs_204_tpt_102_halfLds_dp_ip_CI_sbrr_dirReg
	.globl	fft_rtc_fwd_len1326_factors_17_6_13_wgs_204_tpt_102_halfLds_dp_ip_CI_sbrr_dirReg
	.p2align	8
	.type	fft_rtc_fwd_len1326_factors_17_6_13_wgs_204_tpt_102_halfLds_dp_ip_CI_sbrr_dirReg,@function
fft_rtc_fwd_len1326_factors_17_6_13_wgs_204_tpt_102_halfLds_dp_ip_CI_sbrr_dirReg: ; @fft_rtc_fwd_len1326_factors_17_6_13_wgs_204_tpt_102_halfLds_dp_ip_CI_sbrr_dirReg
; %bb.0:
	s_mov_b64 s[62:63], s[2:3]
	s_mov_b64 s[60:61], s[0:1]
	s_load_dwordx2 s[2:3], s[4:5], 0x18
	s_load_dwordx4 s[8:11], s[4:5], 0x0
	s_load_dwordx2 s[14:15], s[4:5], 0x50
	v_mul_u32_u24_e32 v1, 0x283, v0
	s_add_u32 s60, s60, s7
	s_waitcnt lgkmcnt(0)
	s_load_dwordx2 s[12:13], s[2:3], 0x0
	v_cmp_lt_u64_e64 s[0:1], s[10:11], 2
	v_lshrrev_b32_e32 v192, 16, v1
	v_mov_b32_e32 v3, 0
	v_mov_b32_e32 v1, 0
	s_addc_u32 s61, s61, 0
	v_lshl_add_u32 v5, s6, 1, v192
	v_mov_b32_e32 v6, v3
	s_and_b64 vcc, exec, s[0:1]
	v_mov_b32_e32 v2, 0
	s_cbranch_vccnz .LBB0_8
; %bb.1:
	s_load_dwordx2 s[0:1], s[4:5], 0x10
	s_add_u32 s6, s2, 8
	s_addc_u32 s7, s3, 0
	v_mov_b32_e32 v1, 0
	v_mov_b32_e32 v2, 0
	s_waitcnt lgkmcnt(0)
	s_add_u32 s16, s0, 8
	s_addc_u32 s17, s1, 0
	s_mov_b64 s[18:19], 1
.LBB0_2:                                ; =>This Inner Loop Header: Depth=1
	s_load_dwordx2 s[20:21], s[16:17], 0x0
                                        ; implicit-def: $vgpr7_vgpr8
	s_waitcnt lgkmcnt(0)
	v_or_b32_e32 v4, s21, v6
	v_cmp_ne_u64_e32 vcc, 0, v[3:4]
	s_and_saveexec_b64 s[0:1], vcc
	s_xor_b64 s[22:23], exec, s[0:1]
	s_cbranch_execz .LBB0_4
; %bb.3:                                ;   in Loop: Header=BB0_2 Depth=1
	v_cvt_f32_u32_e32 v4, s20
	v_cvt_f32_u32_e32 v7, s21
	s_sub_u32 s0, 0, s20
	s_subb_u32 s1, 0, s21
	v_mac_f32_e32 v4, 0x4f800000, v7
	v_rcp_f32_e32 v4, v4
	v_mul_f32_e32 v4, 0x5f7ffffc, v4
	v_mul_f32_e32 v7, 0x2f800000, v4
	v_trunc_f32_e32 v7, v7
	v_mac_f32_e32 v4, 0xcf800000, v7
	v_cvt_u32_f32_e32 v7, v7
	v_cvt_u32_f32_e32 v4, v4
	v_mul_lo_u32 v8, s0, v7
	v_mul_hi_u32 v9, s0, v4
	v_mul_lo_u32 v11, s1, v4
	v_mul_lo_u32 v10, s0, v4
	v_add_u32_e32 v8, v9, v8
	v_add_u32_e32 v8, v8, v11
	v_mul_hi_u32 v9, v4, v10
	v_mul_lo_u32 v11, v4, v8
	v_mul_hi_u32 v13, v4, v8
	v_mul_hi_u32 v12, v7, v10
	v_mul_lo_u32 v10, v7, v10
	v_mul_hi_u32 v14, v7, v8
	v_add_co_u32_e32 v9, vcc, v9, v11
	v_addc_co_u32_e32 v11, vcc, 0, v13, vcc
	v_mul_lo_u32 v8, v7, v8
	v_add_co_u32_e32 v9, vcc, v9, v10
	v_addc_co_u32_e32 v9, vcc, v11, v12, vcc
	v_addc_co_u32_e32 v10, vcc, 0, v14, vcc
	v_add_co_u32_e32 v8, vcc, v9, v8
	v_addc_co_u32_e32 v9, vcc, 0, v10, vcc
	v_add_co_u32_e32 v4, vcc, v4, v8
	v_addc_co_u32_e32 v7, vcc, v7, v9, vcc
	v_mul_lo_u32 v8, s0, v7
	v_mul_hi_u32 v9, s0, v4
	v_mul_lo_u32 v10, s1, v4
	v_mul_lo_u32 v11, s0, v4
	v_add_u32_e32 v8, v9, v8
	v_add_u32_e32 v8, v8, v10
	v_mul_lo_u32 v12, v4, v8
	v_mul_hi_u32 v13, v4, v11
	v_mul_hi_u32 v14, v4, v8
	;; [unrolled: 1-line block ×3, first 2 shown]
	v_mul_lo_u32 v11, v7, v11
	v_mul_hi_u32 v9, v7, v8
	v_add_co_u32_e32 v12, vcc, v13, v12
	v_addc_co_u32_e32 v13, vcc, 0, v14, vcc
	v_mul_lo_u32 v8, v7, v8
	v_add_co_u32_e32 v11, vcc, v12, v11
	v_addc_co_u32_e32 v10, vcc, v13, v10, vcc
	v_addc_co_u32_e32 v9, vcc, 0, v9, vcc
	v_add_co_u32_e32 v8, vcc, v10, v8
	v_addc_co_u32_e32 v9, vcc, 0, v9, vcc
	v_add_co_u32_e32 v4, vcc, v4, v8
	v_addc_co_u32_e32 v9, vcc, v7, v9, vcc
	v_mad_u64_u32 v[7:8], s[0:1], v5, v9, 0
	v_mul_hi_u32 v10, v5, v4
	v_add_co_u32_e32 v11, vcc, v10, v7
	v_addc_co_u32_e32 v12, vcc, 0, v8, vcc
	v_mad_u64_u32 v[7:8], s[0:1], v6, v4, 0
	v_mad_u64_u32 v[9:10], s[0:1], v6, v9, 0
	v_add_co_u32_e32 v4, vcc, v11, v7
	v_addc_co_u32_e32 v4, vcc, v12, v8, vcc
	v_addc_co_u32_e32 v7, vcc, 0, v10, vcc
	v_add_co_u32_e32 v4, vcc, v4, v9
	v_addc_co_u32_e32 v9, vcc, 0, v7, vcc
	v_mul_lo_u32 v10, s21, v4
	v_mul_lo_u32 v11, s20, v9
	v_mad_u64_u32 v[7:8], s[0:1], s20, v4, 0
	v_add3_u32 v8, v8, v11, v10
	v_sub_u32_e32 v10, v6, v8
	v_mov_b32_e32 v11, s21
	v_sub_co_u32_e32 v7, vcc, v5, v7
	v_subb_co_u32_e64 v10, s[0:1], v10, v11, vcc
	v_subrev_co_u32_e64 v11, s[0:1], s20, v7
	v_subbrev_co_u32_e64 v10, s[0:1], 0, v10, s[0:1]
	v_cmp_le_u32_e64 s[0:1], s21, v10
	v_cndmask_b32_e64 v12, 0, -1, s[0:1]
	v_cmp_le_u32_e64 s[0:1], s20, v11
	v_cndmask_b32_e64 v11, 0, -1, s[0:1]
	v_cmp_eq_u32_e64 s[0:1], s21, v10
	v_cndmask_b32_e64 v10, v12, v11, s[0:1]
	v_add_co_u32_e64 v11, s[0:1], 2, v4
	v_addc_co_u32_e64 v12, s[0:1], 0, v9, s[0:1]
	v_add_co_u32_e64 v13, s[0:1], 1, v4
	v_addc_co_u32_e64 v14, s[0:1], 0, v9, s[0:1]
	v_subb_co_u32_e32 v8, vcc, v6, v8, vcc
	v_cmp_ne_u32_e64 s[0:1], 0, v10
	v_cmp_le_u32_e32 vcc, s21, v8
	v_cndmask_b32_e64 v10, v14, v12, s[0:1]
	v_cndmask_b32_e64 v12, 0, -1, vcc
	v_cmp_le_u32_e32 vcc, s20, v7
	v_cndmask_b32_e64 v7, 0, -1, vcc
	v_cmp_eq_u32_e32 vcc, s21, v8
	v_cndmask_b32_e32 v7, v12, v7, vcc
	v_cmp_ne_u32_e32 vcc, 0, v7
	v_cndmask_b32_e64 v7, v13, v11, s[0:1]
	v_cndmask_b32_e32 v8, v9, v10, vcc
	v_cndmask_b32_e32 v7, v4, v7, vcc
.LBB0_4:                                ;   in Loop: Header=BB0_2 Depth=1
	s_andn2_saveexec_b64 s[0:1], s[22:23]
	s_cbranch_execz .LBB0_6
; %bb.5:                                ;   in Loop: Header=BB0_2 Depth=1
	v_cvt_f32_u32_e32 v4, s20
	s_sub_i32 s22, 0, s20
	v_rcp_iflag_f32_e32 v4, v4
	v_mul_f32_e32 v4, 0x4f7ffffe, v4
	v_cvt_u32_f32_e32 v4, v4
	v_mul_lo_u32 v7, s22, v4
	v_mul_hi_u32 v7, v4, v7
	v_add_u32_e32 v4, v4, v7
	v_mul_hi_u32 v4, v5, v4
	v_mul_lo_u32 v7, v4, s20
	v_add_u32_e32 v8, 1, v4
	v_sub_u32_e32 v7, v5, v7
	v_subrev_u32_e32 v9, s20, v7
	v_cmp_le_u32_e32 vcc, s20, v7
	v_cndmask_b32_e32 v7, v7, v9, vcc
	v_cndmask_b32_e32 v4, v4, v8, vcc
	v_add_u32_e32 v8, 1, v4
	v_cmp_le_u32_e32 vcc, s20, v7
	v_cndmask_b32_e32 v7, v4, v8, vcc
	v_mov_b32_e32 v8, v3
.LBB0_6:                                ;   in Loop: Header=BB0_2 Depth=1
	s_or_b64 exec, exec, s[0:1]
	v_mul_lo_u32 v4, v8, s20
	v_mul_lo_u32 v11, v7, s21
	v_mad_u64_u32 v[9:10], s[0:1], v7, s20, 0
	s_load_dwordx2 s[0:1], s[6:7], 0x0
	s_add_u32 s18, s18, 1
	v_add3_u32 v4, v10, v11, v4
	v_sub_co_u32_e32 v5, vcc, v5, v9
	v_subb_co_u32_e32 v4, vcc, v6, v4, vcc
	s_waitcnt lgkmcnt(0)
	v_mul_lo_u32 v4, s0, v4
	v_mul_lo_u32 v6, s1, v5
	v_mad_u64_u32 v[1:2], s[0:1], s0, v5, v[1:2]
	s_addc_u32 s19, s19, 0
	s_add_u32 s6, s6, 8
	v_add3_u32 v2, v6, v2, v4
	v_mov_b32_e32 v4, s10
	v_mov_b32_e32 v5, s11
	s_addc_u32 s7, s7, 0
	v_cmp_ge_u64_e32 vcc, s[18:19], v[4:5]
	s_add_u32 s16, s16, 8
	s_addc_u32 s17, s17, 0
	s_cbranch_vccnz .LBB0_9
; %bb.7:                                ;   in Loop: Header=BB0_2 Depth=1
	v_mov_b32_e32 v5, v7
	v_mov_b32_e32 v6, v8
	s_branch .LBB0_2
.LBB0_8:
	v_mov_b32_e32 v8, v6
	v_mov_b32_e32 v7, v5
.LBB0_9:
	s_lshl_b64 s[0:1], s[10:11], 3
	s_add_u32 s0, s2, s0
	s_addc_u32 s1, s3, s1
	s_load_dwordx2 s[2:3], s[0:1], 0x0
	s_load_dwordx2 s[6:7], s[4:5], 0x20
	v_mov_b32_e32 v194, 0
                                        ; implicit-def: $vgpr14_vgpr15
                                        ; implicit-def: $vgpr22_vgpr23
                                        ; implicit-def: $vgpr10_vgpr11
                                        ; implicit-def: $vgpr18_vgpr19
                                        ; implicit-def: $vgpr26_vgpr27
                                        ; implicit-def: $vgpr30_vgpr31
                                        ; implicit-def: $vgpr38_vgpr39
                                        ; implicit-def: $vgpr46_vgpr47
                                        ; implicit-def: $vgpr50_vgpr51
                                        ; implicit-def: $vgpr54_vgpr55
                                        ; implicit-def: $vgpr58_vgpr59
                                        ; implicit-def: $vgpr62_vgpr63
                                        ; implicit-def: $vgpr66_vgpr67
                                        ; implicit-def: $vgpr70_vgpr71
                                        ; implicit-def: $vgpr78_vgpr79
                                        ; implicit-def: $vgpr74_vgpr75
	s_waitcnt lgkmcnt(0)
	v_mad_u64_u32 v[5:6], s[0:1], s2, v7, v[1:2]
	s_mov_b32 s0, 0x2828283
	v_mul_lo_u32 v3, s2, v8
	v_mul_lo_u32 v4, s3, v7
	v_mul_hi_u32 v1, v0, s0
	v_cmp_gt_u64_e32 vcc, s[6:7], v[7:8]
	v_add3_u32 v6, v4, v6, v3
	v_mul_u32_u24_e32 v1, 0x66, v1
	buffer_store_dword v5, off, s[60:63], 0 ; 4-byte Folded Spill
	s_nop 0
	buffer_store_dword v6, off, s[60:63], 0 offset:4 ; 4-byte Folded Spill
	v_sub_u32_e32 v195, v0, v1
                                        ; implicit-def: $vgpr6_vgpr7
	s_and_saveexec_b64 s[2:3], vcc
	s_cbranch_execz .LBB0_13
; %bb.10:
	s_movk_i32 s0, 0x4e
	v_cmp_gt_u32_e64 s[0:1], s0, v195
                                        ; implicit-def: $vgpr4_vgpr5
                                        ; implicit-def: $vgpr72_vgpr73
                                        ; implicit-def: $vgpr76_vgpr77
                                        ; implicit-def: $vgpr68_vgpr69
                                        ; implicit-def: $vgpr64_vgpr65
                                        ; implicit-def: $vgpr60_vgpr61
                                        ; implicit-def: $vgpr56_vgpr57
                                        ; implicit-def: $vgpr52_vgpr53
                                        ; implicit-def: $vgpr48_vgpr49
                                        ; implicit-def: $vgpr44_vgpr45
                                        ; implicit-def: $vgpr36_vgpr37
                                        ; implicit-def: $vgpr28_vgpr29
                                        ; implicit-def: $vgpr24_vgpr25
                                        ; implicit-def: $vgpr16_vgpr17
                                        ; implicit-def: $vgpr8_vgpr9
                                        ; implicit-def: $vgpr20_vgpr21
                                        ; implicit-def: $vgpr12_vgpr13
	s_and_saveexec_b64 s[4:5], s[0:1]
	s_cbranch_execz .LBB0_12
; %bb.11:
	v_mad_u64_u32 v[0:1], s[0:1], s12, v195, 0
	v_add_u32_e32 v7, 0x4e, v195
	v_mad_u64_u32 v[4:5], s[0:1], s12, v7, 0
	v_mad_u64_u32 v[1:2], s[0:1], s13, v195, v[1:2]
	buffer_load_dword v2, off, s[60:63], 0  ; 4-byte Folded Reload
	buffer_load_dword v3, off, s[60:63], 0 offset:4 ; 4-byte Folded Reload
	v_mov_b32_e32 v6, s15
	v_add_u32_e32 v8, 0x9c, v195
	v_lshlrev_b64 v[0:1], 4, v[0:1]
	v_add_u32_e32 v10, 0xea, v195
	s_waitcnt vmcnt(0)
	v_lshlrev_b64 v[2:3], 4, v[2:3]
	v_add_co_u32_e64 v16, s[0:1], s14, v2
	v_mov_b32_e32 v2, v5
	v_addc_co_u32_e64 v17, s[0:1], v6, v3, s[0:1]
	v_mad_u64_u32 v[2:3], s[0:1], s13, v7, v[2:3]
	v_mad_u64_u32 v[6:7], s[0:1], s12, v8, 0
	v_mov_b32_e32 v5, v2
	v_add_co_u32_e64 v0, s[0:1], v16, v0
	v_lshlrev_b64 v[2:3], 4, v[4:5]
	v_mov_b32_e32 v4, v7
	v_addc_co_u32_e64 v1, s[0:1], v17, v1, s[0:1]
	v_mad_u64_u32 v[4:5], s[0:1], s13, v8, v[4:5]
	v_mad_u64_u32 v[8:9], s[0:1], s12, v10, 0
	v_mov_b32_e32 v7, v4
	v_add_co_u32_e64 v2, s[0:1], v16, v2
	v_lshlrev_b64 v[4:5], 4, v[6:7]
	v_mov_b32_e32 v6, v9
	v_addc_co_u32_e64 v3, s[0:1], v17, v3, s[0:1]
	v_mad_u64_u32 v[6:7], s[0:1], s13, v10, v[6:7]
	v_add_u32_e32 v7, 0x138, v195
	v_mad_u64_u32 v[10:11], s[0:1], s12, v7, 0
	v_add_co_u32_e64 v12, s[0:1], v16, v4
	v_mov_b32_e32 v9, v6
	v_mov_b32_e32 v6, v11
	v_addc_co_u32_e64 v13, s[0:1], v17, v5, s[0:1]
	v_lshlrev_b64 v[4:5], 4, v[8:9]
	v_mad_u64_u32 v[6:7], s[0:1], s13, v7, v[6:7]
	v_add_u32_e32 v9, 0x186, v195
	v_mad_u64_u32 v[7:8], s[0:1], s12, v9, 0
	v_add_co_u32_e64 v14, s[0:1], v16, v4
	v_mov_b32_e32 v11, v6
	v_mov_b32_e32 v6, v8
	v_addc_co_u32_e64 v15, s[0:1], v17, v5, s[0:1]
	v_lshlrev_b64 v[4:5], 4, v[10:11]
	v_mad_u64_u32 v[8:9], s[0:1], s13, v9, v[6:7]
	v_add_u32_e32 v11, 0x1d4, v195
	v_mad_u64_u32 v[9:10], s[0:1], s12, v11, 0
	v_add_co_u32_e64 v20, s[0:1], v16, v4
	v_mov_b32_e32 v6, v10
	v_addc_co_u32_e64 v21, s[0:1], v17, v5, s[0:1]
	v_lshlrev_b64 v[4:5], 4, v[7:8]
	v_mad_u64_u32 v[6:7], s[0:1], s13, v11, v[6:7]
	v_add_u32_e32 v11, 0x222, v195
	v_mad_u64_u32 v[7:8], s[0:1], s12, v11, 0
	v_add_co_u32_e64 v22, s[0:1], v16, v4
	v_mov_b32_e32 v10, v6
	v_mov_b32_e32 v6, v8
	v_addc_co_u32_e64 v23, s[0:1], v17, v5, s[0:1]
	v_lshlrev_b64 v[4:5], 4, v[9:10]
	v_mad_u64_u32 v[8:9], s[0:1], s13, v11, v[6:7]
	v_add_u32_e32 v11, 0x270, v195
	v_mad_u64_u32 v[9:10], s[0:1], s12, v11, 0
	v_add_co_u32_e64 v32, s[0:1], v16, v4
	;; [unrolled: 15-line block ×6, first 2 shown]
	v_mov_b32_e32 v6, v10
	v_addc_co_u32_e64 v89, s[0:1], v17, v5, s[0:1]
	v_lshlrev_b64 v[4:5], 4, v[7:8]
	v_mad_u64_u32 v[6:7], s[0:1], s13, v11, v[6:7]
	v_add_co_u32_e64 v90, s[0:1], v16, v4
	v_mov_b32_e32 v10, v6
	v_addc_co_u32_e64 v91, s[0:1], v17, v5, s[0:1]
	v_lshlrev_b64 v[4:5], 4, v[9:10]
	v_add_co_u32_e64 v92, s[0:1], v16, v4
	v_addc_co_u32_e64 v93, s[0:1], v17, v5, s[0:1]
	global_load_dwordx4 v[4:7], v[0:1], off
	global_load_dwordx4 v[72:75], v[2:3], off
	;; [unrolled: 1-line block ×15, first 2 shown]
                                        ; kill: killed $vgpr84 killed $vgpr85
                                        ; kill: killed $vgpr20 killed $vgpr21
                                        ; kill: killed $vgpr86 killed $vgpr87
                                        ; kill: killed $vgpr22 killed $vgpr23
                                        ; kill: killed $vgpr88 killed $vgpr89
                                        ; kill: killed $vgpr32 killed $vgpr33
                                        ; kill: killed $vgpr34 killed $vgpr35
                                        ; kill: killed $vgpr40 killed $vgpr41
                                        ; kill: killed $vgpr0 killed $vgpr1
                                        ; kill: killed $vgpr42 killed $vgpr43
                                        ; kill: killed $vgpr2 killed $vgpr3
                                        ; kill: killed $vgpr80 killed $vgpr81
                                        ; kill: killed $vgpr12 killed $vgpr13
                                        ; kill: killed $vgpr82 killed $vgpr83
                                        ; kill: killed $vgpr14 killed $vgpr15
	global_load_dwordx4 v[20:23], v[90:91], off
	global_load_dwordx4 v[12:15], v[92:93], off
.LBB0_12:
	s_or_b64 exec, exec, s[4:5]
	v_mov_b32_e32 v194, v195
.LBB0_13:
	s_or_b64 exec, exec, s[2:3]
	s_waitcnt vmcnt(0)
	v_add_f64 v[90:91], v[12:13], v[72:73]
	s_mov_b32 s20, 0x75d4884
	s_mov_b32 s4, 0x2b2883cd
	;; [unrolled: 1-line block ×4, first 2 shown]
	v_add_f64 v[116:117], v[74:75], -v[14:15]
	v_add_f64 v[102:103], v[20:21], v[76:77]
	s_mov_b32 s26, 0x2a9d6da3
	v_mul_f64 v[42:43], v[90:91], s[20:21]
	v_mul_f64 v[82:83], v[90:91], s[4:5]
	s_mov_b32 s6, 0x3259b75e
	s_mov_b32 s28, 0x7c9e640b
	;; [unrolled: 1-line block ×7, first 2 shown]
	v_add_f64 v[128:129], v[78:79], -v[22:23]
	v_mul_f64 v[80:81], v[102:103], s[6:7]
	v_fma_f64 v[0:1], v[116:117], s[26:27], v[42:43]
	v_fma_f64 v[2:3], v[116:117], s[28:29], v[82:83]
	v_mul_f64 v[84:85], v[102:103], s[30:31]
	v_add_f64 v[118:119], v[8:9], v[68:69]
	s_mov_b32 s10, 0xeb564b22
	s_mov_b32 s16, 0x6c9a05f6
	;; [unrolled: 1-line block ×6, first 2 shown]
	v_add_f64 v[0:1], v[4:5], v[0:1]
	v_fma_f64 v[32:33], v[128:129], s[10:11], v[80:81]
	v_add_f64 v[2:3], v[4:5], v[2:3]
	v_fma_f64 v[34:35], v[128:129], s[16:17], v[84:85]
	v_add_f64 v[136:137], v[70:71], -v[10:11]
	v_mul_f64 v[86:87], v[118:119], s[30:31]
	v_mul_f64 v[88:89], v[118:119], s[18:19]
	v_add_f64 v[104:105], v[16:17], v[64:65]
	s_mov_b32 s22, 0xacd6c6b4
	s_mov_b32 s24, 0xc61f0d01
	;; [unrolled: 1-line block ×6, first 2 shown]
	v_add_f64 v[0:1], v[32:33], v[0:1]
	v_add_f64 v[2:3], v[34:35], v[2:3]
	v_fma_f64 v[32:33], v[136:137], s[16:17], v[86:87]
	v_fma_f64 v[34:35], v[136:137], s[58:59], v[88:89]
	v_add_f64 v[138:139], v[66:67], -v[18:19]
	v_mul_f64 v[92:93], v[104:105], s[18:19]
	v_add_f64 v[112:113], v[24:25], v[60:61]
	v_mul_f64 v[96:97], v[104:105], s[24:25]
	s_mov_b32 s50, 0x923c349f
	s_mov_b32 s34, 0x910ea3b9
	;; [unrolled: 1-line block ×6, first 2 shown]
	v_add_f64 v[0:1], v[32:33], v[0:1]
	v_add_f64 v[2:3], v[34:35], v[2:3]
	v_fma_f64 v[32:33], v[138:139], s[22:23], v[92:93]
	v_add_f64 v[134:135], v[62:63], -v[26:27]
	v_mul_f64 v[94:95], v[112:113], s[34:35]
	v_fma_f64 v[34:35], v[138:139], s[36:37], v[96:97]
	v_mul_f64 v[98:99], v[112:113], s[20:21]
	v_add_f64 v[148:149], v[28:29], v[56:57]
	s_mov_b32 s46, 0x4363dd80
	s_mov_b32 s48, 0x370991
	s_mov_b32 s47, 0x3fe0d888
	s_mov_b32 s39, 0x3fe58eea
	s_mov_b32 s38, s26
	s_mov_b32 s49, 0x3fedd6d0
	v_add_f64 v[0:1], v[32:33], v[0:1]
	v_fma_f64 v[32:33], v[134:135], s[46:47], v[94:95]
	v_add_f64 v[2:3], v[34:35], v[2:3]
	v_fma_f64 v[34:35], v[134:135], s[38:39], v[98:99]
	v_add_f64 v[122:123], v[58:59], -v[30:31]
	v_mul_f64 v[100:101], v[148:149], s[24:25]
	v_mul_f64 v[106:107], v[148:149], s[48:49]
	v_add_f64 v[120:121], v[36:37], v[52:53]
	s_mov_b32 s40, 0x5d8e7cdc
	s_mov_b32 s41, 0xbfd71e95
	v_add_f64 v[0:1], v[32:33], v[0:1]
	v_add_f64 v[2:3], v[34:35], v[2:3]
	v_add_f64 v[124:125], v[54:55], -v[38:39]
	v_fma_f64 v[32:33], v[122:123], s[36:37], v[100:101]
	v_fma_f64 v[34:35], v[122:123], s[40:41], v[106:107]
	v_mul_f64 v[110:111], v[120:121], s[4:5]
	v_mul_f64 v[114:115], v[120:121], s[6:7]
	;; [unrolled: 1-line block ×3, first 2 shown]
	s_mov_b32 s43, 0x3feca52d
	s_mov_b32 s42, s28
	v_mul_f64 v[186:187], v[90:91], s[24:25]
	v_add_f64 v[0:1], v[32:33], v[0:1]
	v_add_f64 v[2:3], v[34:35], v[2:3]
	v_fma_f64 v[32:33], v[124:125], s[42:43], v[110:111]
	v_fma_f64 v[34:35], v[124:125], s[10:11], v[114:115]
	;; [unrolled: 1-line block ×3, first 2 shown]
	v_mul_f64 v[130:131], v[102:103], s[18:19]
	v_mul_f64 v[188:189], v[102:103], s[34:35]
	;; [unrolled: 1-line block ×5, first 2 shown]
	v_add_f64 v[0:1], v[32:33], v[0:1]
	v_add_f64 v[2:3], v[34:35], v[2:3]
	v_fma_f64 v[32:33], v[116:117], s[50:51], v[186:187]
	v_add_f64 v[34:35], v[4:5], v[40:41]
	v_fma_f64 v[40:41], v[128:129], s[22:23], v[130:131]
	v_fma_f64 v[140:141], v[128:129], s[46:47], v[188:189]
	v_mul_f64 v[156:157], v[104:105], s[48:49]
	v_fma_f64 v[144:145], v[116:117], s[40:41], v[142:143]
	v_mul_f64 v[146:147], v[102:103], s[20:21]
	s_mov_b32 s45, 0x3fd71e95
	v_add_f64 v[32:33], v[4:5], v[32:33]
	s_mov_b32 s44, s40
	v_add_f64 v[34:35], v[40:41], v[34:35]
	v_fma_f64 v[40:41], v[136:137], s[36:37], v[132:133]
	v_mul_f64 v[172:173], v[104:105], s[4:5]
	v_add_f64 v[144:145], v[4:5], v[144:145]
	v_fma_f64 v[152:153], v[128:129], s[26:27], v[146:147]
	v_mul_f64 v[150:151], v[118:119], s[4:5]
	;; [unrolled: 3-line block ×4, first 2 shown]
	v_mul_f64 v[168:169], v[148:149], s[34:35]
	v_mul_f64 v[178:179], v[148:149], s[6:7]
	;; [unrolled: 1-line block ×3, first 2 shown]
	v_add_f64 v[32:33], v[140:141], v[32:33]
	v_fma_f64 v[140:141], v[138:139], s[28:29], v[172:173]
	s_mov_b32 s53, 0xbfe0d888
	v_add_f64 v[34:35], v[40:41], v[34:35]
	v_add_f64 v[40:41], v[152:153], v[144:145]
	v_fma_f64 v[144:145], v[136:137], s[28:29], v[150:151]
	v_mul_f64 v[152:153], v[104:105], s[6:7]
	v_fma_f64 v[158:159], v[134:135], s[22:23], v[174:175]
	s_mov_b32 s52, s46
	v_add_f64 v[32:33], v[140:141], v[32:33]
	v_fma_f64 v[140:141], v[134:135], s[28:29], v[164:165]
	s_mov_b32 s55, 0x3fefdd0d
	s_mov_b32 s54, s10
	v_add_f64 v[40:41], v[144:145], v[40:41]
	v_fma_f64 v[144:145], v[138:139], s[10:11], v[152:153]
	v_fma_f64 v[160:161], v[122:123], s[52:53], v[168:169]
	;; [unrolled: 1-line block ×3, first 2 shown]
	v_add_f64 v[32:33], v[158:159], v[32:33]
	v_add_f64 v[34:35], v[140:141], v[34:35]
	v_fma_f64 v[182:183], v[134:135], s[50:51], v[154:155]
	v_mul_f64 v[158:159], v[148:149], s[30:31]
	v_add_f64 v[166:167], v[44:45], v[48:49]
	v_add_f64 v[40:41], v[144:145], v[40:41]
	v_mul_f64 v[176:177], v[120:121], s[30:31]
	v_mul_f64 v[180:181], v[120:121], s[48:49]
	v_add_f64 v[32:33], v[162:163], v[32:33]
	v_add_f64 v[34:35], v[160:161], v[34:35]
	v_mul_f64 v[160:161], v[120:121], s[34:35]
	v_fma_f64 v[162:163], v[122:123], s[16:17], v[158:159]
	s_mov_b32 s57, 0x3fe9895b
	v_add_f64 v[40:41], v[182:183], v[40:41]
	s_mov_b32 s56, s16
	v_add_f64 v[170:171], v[50:51], -v[46:47]
	v_mul_f64 v[140:141], v[166:167], s[48:49]
	v_mul_f64 v[144:145], v[166:167], s[34:35]
	v_fma_f64 v[196:197], v[124:125], s[56:57], v[176:177]
	v_fma_f64 v[198:199], v[124:125], s[40:41], v[180:181]
	v_mul_f64 v[182:183], v[166:167], s[20:21]
	v_mul_f64 v[184:185], v[166:167], s[30:31]
	v_add_f64 v[40:41], v[162:163], v[40:41]
	v_fma_f64 v[200:201], v[124:125], s[52:53], v[160:161]
	v_mul_f64 v[162:163], v[166:167], s[18:19]
	v_fma_f64 v[202:203], v[170:171], s[44:45], v[140:141]
	v_fma_f64 v[204:205], v[170:171], s[52:53], v[144:145]
	v_add_f64 v[196:197], v[196:197], v[34:35]
	v_add_f64 v[198:199], v[198:199], v[32:33]
	v_fma_f64 v[206:207], v[170:171], s[38:39], v[182:183]
	v_fma_f64 v[208:209], v[170:171], s[16:17], v[184:185]
	v_add_f64 v[40:41], v[200:201], v[40:41]
	v_fma_f64 v[200:201], v[170:171], s[22:23], v[162:163]
	v_add_f64 v[34:35], v[202:203], v[0:1]
	v_add_f64 v[32:33], v[204:205], v[2:3]
	v_and_b32_e32 v108, 1, v192
	v_mov_b32_e32 v109, 0x52e
	v_add_f64 v[2:3], v[206:207], v[196:197]
	v_add_f64 v[0:1], v[208:209], v[198:199]
	v_cmp_eq_u32_e64 s[0:1], 1, v108
	v_add_f64 v[40:41], v[200:201], v[40:41]
	v_cndmask_b32_e64 v108, 0, v109, s[0:1]
	s_movk_i32 s0, 0x4e
	v_cmp_gt_u32_e64 s[2:3], s0, v195
	v_lshlrev_b32_e32 v254, 3, v108
	s_and_saveexec_b64 s[0:1], s[2:3]
	s_cbranch_execz .LBB0_15
; %bb.14:
	v_mul_f64 v[192:193], v[116:117], s[22:23]
	v_mul_f64 v[205:206], v[128:129], s[44:45]
	;; [unrolled: 1-line block ×8, first 2 shown]
	v_fma_f64 v[207:208], v[90:91], s[18:19], v[192:193]
	v_fma_f64 v[221:222], v[102:103], s[48:49], v[205:206]
	v_fma_f64 v[192:193], v[90:91], s[18:19], -v[192:193]
	v_fma_f64 v[233:234], v[118:119], s[34:35], v[219:220]
	v_fma_f64 v[205:206], v[102:103], s[48:49], -v[205:206]
	;; [unrolled: 2-line block ×3, first 2 shown]
	v_fma_f64 v[231:232], v[104:105], s[20:21], -v[231:232]
	v_add_f64 v[207:208], v[4:5], v[207:208]
	v_fma_f64 v[247:248], v[112:113], s[30:31], v[239:240]
	v_add_f64 v[192:193], v[4:5], v[192:193]
	v_mul_f64 v[249:250], v[138:139], s[56:57]
	v_fma_f64 v[239:240], v[112:113], s[30:31], -v[239:240]
	v_mul_f64 v[197:198], v[116:117], s[40:41]
	v_mul_f64 v[108:109], v[116:117], s[26:27]
	;; [unrolled: 1-line block ×3, first 2 shown]
	v_add_f64 v[207:208], v[221:222], v[207:208]
	v_mul_f64 v[203:204], v[116:117], s[10:11]
	v_add_f64 v[192:193], v[205:206], v[192:193]
	v_mul_f64 v[209:210], v[116:117], s[50:51]
	v_mul_f64 v[211:212], v[128:129], s[26:27]
	;; [unrolled: 1-line block ×5, first 2 shown]
	v_add_f64 v[207:208], v[233:234], v[207:208]
	v_mul_f64 v[233:234], v[116:117], s[52:53]
	v_add_f64 v[192:193], v[219:220], v[192:193]
	v_mul_f64 v[219:220], v[128:129], s[42:43]
	v_mul_f64 v[116:117], v[116:117], s[16:17]
	;; [unrolled: 1-line block ×5, first 2 shown]
	v_add_f64 v[207:208], v[241:242], v[207:208]
	v_fma_f64 v[241:242], v[90:91], s[34:35], -v[233:234]
	v_fma_f64 v[233:234], v[90:91], s[34:35], v[233:234]
	v_add_f64 v[192:193], v[231:232], v[192:193]
	v_fma_f64 v[231:232], v[102:103], s[4:5], -v[219:220]
	v_fma_f64 v[219:220], v[102:103], s[4:5], v[219:220]
	v_mul_f64 v[225:226], v[136:137], s[28:29]
	v_mul_f64 v[227:228], v[136:137], s[16:17]
	v_add_f64 v[207:208], v[247:248], v[207:208]
	v_add_f64 v[241:242], v[4:5], v[241:242]
	;; [unrolled: 1-line block ×3, first 2 shown]
	v_fma_f64 v[247:248], v[148:149], s[4:5], v[245:246]
	v_fma_f64 v[245:246], v[148:149], s[4:5], -v[245:246]
	v_add_f64 v[192:193], v[239:240], v[192:193]
	v_mul_f64 v[239:240], v[134:135], s[40:41]
	v_mul_f64 v[229:230], v[136:137], s[58:59]
	;; [unrolled: 1-line block ×3, first 2 shown]
	v_add_f64 v[231:232], v[231:232], v[241:242]
	v_fma_f64 v[241:242], v[118:119], s[6:7], v[251:252]
	v_add_f64 v[219:220], v[219:220], v[233:234]
	v_add_f64 v[207:208], v[247:248], v[207:208]
	v_fma_f64 v[247:248], v[120:121], s[24:25], v[243:244]
	v_fma_f64 v[251:252], v[118:119], s[6:7], -v[251:252]
	v_fma_f64 v[233:234], v[120:121], s[24:25], -v[243:244]
	v_fma_f64 v[243:244], v[104:105], s[30:31], v[249:250]
	v_add_f64 v[192:193], v[245:246], v[192:193]
	v_mul_f64 v[245:246], v[122:123], s[22:23]
	v_add_f64 v[219:220], v[241:242], v[219:220]
	v_fma_f64 v[241:242], v[90:91], s[30:31], v[116:117]
	v_add_f64 v[207:208], v[247:248], v[207:208]
	v_fma_f64 v[247:248], v[104:105], s[30:31], -v[249:250]
	v_add_f64 v[231:232], v[251:252], v[231:232]
	v_fma_f64 v[249:250], v[112:113], s[48:49], v[239:240]
	v_mul_f64 v[235:236], v[136:137], s[38:39]
	v_fma_f64 v[251:252], v[148:149], s[18:19], v[245:246]
	v_add_f64 v[219:220], v[243:244], v[219:220]
	v_fma_f64 v[243:244], v[102:103], s[24:25], v[128:129]
	v_add_f64 v[241:242], v[4:5], v[241:242]
	v_fma_f64 v[239:240], v[112:113], s[48:49], -v[239:240]
	v_add_f64 v[231:232], v[247:248], v[231:232]
	v_mul_f64 v[247:248], v[124:125], s[38:39]
	v_mul_f64 v[136:137], v[136:137], s[40:41]
	v_add_f64 v[192:193], v[233:234], v[192:193]
	v_add_f64 v[219:220], v[249:250], v[219:220]
	v_fma_f64 v[90:91], v[90:91], s[30:31], -v[116:117]
	v_add_f64 v[241:242], v[243:244], v[241:242]
	v_fma_f64 v[243:244], v[166:167], s[6:7], v[205:206]
	v_fma_f64 v[205:206], v[166:167], s[6:7], -v[205:206]
	v_fma_f64 v[233:234], v[120:121], s[20:21], -v[247:248]
	v_fma_f64 v[247:248], v[120:121], s[20:21], v[247:248]
	v_mul_f64 v[237:238], v[138:139], s[10:11]
	v_add_f64 v[219:220], v[251:252], v[219:220]
	v_add_f64 v[231:232], v[239:240], v[231:232]
	v_mul_f64 v[239:240], v[138:139], s[52:53]
	v_fma_f64 v[249:250], v[118:119], s[48:49], v[136:137]
	v_add_f64 v[207:208], v[243:244], v[207:208]
	v_mul_f64 v[243:244], v[138:139], s[22:23]
	v_add_f64 v[192:193], v[205:206], v[192:193]
	v_mul_f64 v[205:206], v[138:139], s[36:37]
	;; [unrolled: 2-line block ×3, first 2 shown]
	v_mul_f64 v[138:139], v[138:139], s[28:29]
	v_fma_f64 v[102:103], v[102:103], s[24:25], -v[128:129]
	v_add_f64 v[90:91], v[4:5], v[90:91]
	v_fma_f64 v[118:119], v[118:119], s[48:49], -v[136:137]
	v_add_f64 v[136:137], v[190:191], -v[235:236]
	v_add_f64 v[190:191], v[72:73], v[4:5]
	v_fma_f64 v[251:252], v[104:105], s[34:35], v[239:240]
	v_fma_f64 v[104:105], v[104:105], s[34:35], -v[239:240]
	v_add_f64 v[138:139], v[172:173], -v[138:139]
	v_fma_f64 v[245:246], v[148:149], s[18:19], -v[245:246]
	v_add_f64 v[90:91], v[102:103], v[90:91]
	v_add_f64 v[82:83], v[82:83], -v[201:202]
	v_add_f64 v[142:143], v[142:143], -v[197:198]
	v_add_f64 v[172:173], v[76:77], v[190:191]
	v_add_f64 v[42:43], v[42:43], -v[108:109]
	v_add_f64 v[186:187], v[186:187], -v[209:210]
	;; [unrolled: 1-line block ×3, first 2 shown]
	v_add_f64 v[231:232], v[245:246], v[231:232]
	v_add_f64 v[90:91], v[118:119], v[90:91]
	v_mul_f64 v[245:246], v[170:171], s[50:51]
	v_add_f64 v[241:242], v[249:250], v[241:242]
	v_add_f64 v[172:173], v[68:69], v[172:173]
	v_mul_f64 v[249:250], v[134:135], s[54:55]
	v_add_f64 v[84:85], v[84:85], -v[215:216]
	v_add_f64 v[82:83], v[4:5], v[82:83]
	v_add_f64 v[231:232], v[233:234], v[231:232]
	v_add_f64 v[90:91], v[104:105], v[90:91]
	v_fma_f64 v[233:234], v[166:167], s[24:25], -v[245:246]
	v_add_f64 v[146:147], v[146:147], -v[211:212]
	v_add_f64 v[104:105], v[64:65], v[172:173]
	v_add_f64 v[142:143], v[4:5], v[142:143]
	v_add_f64 v[80:81], v[80:81], -v[213:214]
	v_add_f64 v[42:43], v[4:5], v[42:43]
	v_add_f64 v[188:189], v[188:189], -v[223:224]
	v_add_f64 v[186:187], v[4:5], v[186:187]
	v_add_f64 v[130:131], v[130:131], -v[217:218]
	v_add_f64 v[4:5], v[4:5], v[126:127]
	v_add_f64 v[104:105], v[60:61], v[104:105]
	;; [unrolled: 1-line block ×3, first 2 shown]
	v_fma_f64 v[251:252], v[112:113], s[6:7], v[249:250]
	v_add_f64 v[231:232], v[233:234], v[231:232]
	v_mul_f64 v[233:234], v[122:123], s[26:27]
	v_add_f64 v[88:89], v[88:89], -v[229:230]
	v_add_f64 v[82:83], v[84:85], v[82:83]
	v_add_f64 v[84:85], v[86:87], -v[227:228]
	v_add_f64 v[104:105], v[56:57], v[104:105]
	v_add_f64 v[86:87], v[150:151], -v[225:226]
	v_add_f64 v[126:127], v[146:147], v[142:143]
	v_add_f64 v[42:43], v[80:81], v[42:43]
	v_add_f64 v[186:187], v[188:189], v[186:187]
	v_fma_f64 v[112:113], v[112:113], s[6:7], -v[249:250]
	v_add_f64 v[132:133], v[132:133], -v[221:222]
	v_add_f64 v[4:5], v[130:131], v[4:5]
	v_add_f64 v[104:105], v[52:53], v[104:105]
	;; [unrolled: 1-line block ×3, first 2 shown]
	v_mul_f64 v[251:252], v[134:135], s[50:51]
	v_mul_f64 v[209:210], v[134:135], s[46:47]
	v_fma_f64 v[116:117], v[148:149], s[20:21], v[233:234]
	v_fma_f64 v[148:149], v[148:149], s[20:21], -v[233:234]
	v_mul_f64 v[233:234], v[134:135], s[38:39]
	v_add_f64 v[80:81], v[96:97], -v[205:206]
	v_add_f64 v[104:105], v[48:49], v[104:105]
	v_add_f64 v[82:83], v[88:89], v[82:83]
	v_add_f64 v[88:89], v[92:93], -v[243:244]
	v_add_f64 v[92:93], v[152:153], -v[237:238]
	v_add_f64 v[86:87], v[86:87], v[126:127]
	v_add_f64 v[42:43], v[84:85], v[42:43]
	v_mul_f64 v[223:224], v[134:135], s[28:29]
	v_mul_f64 v[134:135], v[134:135], s[22:23]
	v_add_f64 v[104:105], v[44:45], v[104:105]
	v_add_f64 v[136:137], v[136:137], v[186:187]
	;; [unrolled: 1-line block ×3, first 2 shown]
	v_add_f64 v[156:157], v[156:157], -v[247:248]
	v_add_f64 v[4:5], v[132:133], v[4:5]
	v_mul_f64 v[128:129], v[122:123], s[16:17]
	v_mul_f64 v[188:189], v[122:123], s[40:41]
	v_add_f64 v[84:85], v[98:99], -v[233:234]
	v_add_f64 v[104:105], v[36:37], v[104:105]
	v_add_f64 v[80:81], v[80:81], v[82:83]
	v_add_f64 v[82:83], v[94:95], -v[209:210]
	v_add_f64 v[94:95], v[154:155], -v[251:252]
	v_add_f64 v[86:87], v[92:93], v[86:87]
	v_mul_f64 v[235:236], v[122:123], s[36:37]
	v_add_f64 v[42:43], v[88:89], v[42:43]
	v_mul_f64 v[102:103], v[122:123], s[52:53]
	;; [unrolled: 2-line block ×3, first 2 shown]
	v_add_f64 v[134:135], v[174:175], -v[134:135]
	v_add_f64 v[136:137], v[138:139], v[136:137]
	v_add_f64 v[90:91], v[148:149], v[90:91]
	v_add_f64 v[148:149], v[164:165], -v[223:224]
	v_add_f64 v[4:5], v[156:157], v[4:5]
	v_mul_f64 v[190:191], v[124:125], s[52:53]
	v_add_f64 v[92:93], v[24:25], v[96:97]
	v_mul_f64 v[239:240], v[124:125], s[10:11]
	v_add_f64 v[88:89], v[106:107], -v[188:189]
	v_add_f64 v[80:81], v[84:85], v[80:81]
	v_add_f64 v[96:97], v[158:159], -v[128:129]
	v_add_f64 v[86:87], v[94:95], v[86:87]
	v_mul_f64 v[186:187], v[124:125], s[42:43]
	v_add_f64 v[84:85], v[100:101], -v[235:236]
	v_add_f64 v[92:93], v[16:17], v[92:93]
	v_add_f64 v[42:43], v[82:83], v[42:43]
	v_mul_f64 v[118:119], v[124:125], s[56:57]
	v_mul_f64 v[174:175], v[124:125], s[40:41]
	v_add_f64 v[122:123], v[178:179], -v[122:123]
	v_add_f64 v[134:135], v[134:135], v[136:137]
	v_add_f64 v[102:103], v[168:169], -v[102:103]
	v_add_f64 v[4:5], v[148:149], v[4:5]
	v_mul_f64 v[124:125], v[124:125], s[22:23]
	v_mul_f64 v[138:139], v[170:171], s[22:23]
	;; [unrolled: 1-line block ×3, first 2 shown]
	v_add_f64 v[82:83], v[114:115], -v[239:240]
	v_add_f64 v[80:81], v[88:89], v[80:81]
	v_add_f64 v[94:95], v[160:161], -v[190:191]
	v_add_f64 v[86:87], v[96:97], v[86:87]
	v_add_f64 v[92:93], v[8:9], v[92:93]
	v_mul_f64 v[249:250], v[170:171], s[44:45]
	v_add_f64 v[88:89], v[110:111], -v[186:187]
	v_add_f64 v[42:43], v[84:85], v[42:43]
	v_mul_f64 v[178:179], v[170:171], s[42:43]
	v_mul_f64 v[136:137], v[170:171], s[38:39]
	;; [unrolled: 1-line block ×3, first 2 shown]
	v_add_f64 v[174:175], v[180:181], -v[174:175]
	v_add_f64 v[122:123], v[122:123], v[134:135]
	v_add_f64 v[118:119], v[176:177], -v[118:119]
	v_add_f64 v[4:5], v[102:103], v[4:5]
	v_fma_f64 v[134:135], v[120:121], s[18:19], v[124:125]
	v_fma_f64 v[120:121], v[120:121], s[18:19], -v[124:125]
	v_add_f64 v[116:117], v[116:117], v[241:242]
	v_add_f64 v[84:85], v[144:145], -v[172:173]
	v_add_f64 v[80:81], v[82:83], v[80:81]
	v_add_f64 v[96:97], v[162:163], -v[138:139]
	v_add_f64 v[86:87], v[94:95], v[86:87]
	v_add_f64 v[92:93], v[20:21], v[92:93]
	v_add_f64 v[82:83], v[140:141], -v[249:250]
	v_add_f64 v[42:43], v[88:89], v[42:43]
	v_add_f64 v[124:125], v[184:185], -v[170:171]
	;; [unrolled: 2-line block ×3, first 2 shown]
	v_add_f64 v[4:5], v[118:119], v[4:5]
	v_fma_f64 v[245:246], v[166:167], s[24:25], v[245:246]
	v_fma_f64 v[112:113], v[166:167], s[4:5], v[178:179]
	v_fma_f64 v[166:167], v[166:167], s[4:5], -v[178:179]
	v_add_f64 v[88:89], v[120:121], v[90:91]
	v_add_f64 v[90:91], v[134:135], v[116:117]
	;; [unrolled: 1-line block ×11, first 2 shown]
	v_mul_u32_u24_e32 v92, 0x88, v195
	v_add3_u32 v92, 0, v92, v254
	ds_write2_b64 v92, v[86:87], v[84:85] offset1:1
	ds_write2_b64 v92, v[42:43], v[80:81] offset0:2 offset1:3
	ds_write2_b64 v92, v[4:5], v[94:95] offset0:4 offset1:5
	;; [unrolled: 1-line block ×7, first 2 shown]
	ds_write_b64 v92, v[40:41] offset:128
.LBB0_15:
	s_or_b64 exec, exec, s[0:1]
	v_lshlrev_b32_e32 v4, 3, v195
	v_add_u32_e32 v255, 0, v4
	v_add_u32_e32 v198, v255, v254
	v_add3_u32 v199, 0, v254, v4
	v_add_u32_e32 v4, 0x800, v198
	s_waitcnt lgkmcnt(0)
	s_barrier
	ds_read2_b64 v[84:87], v4 offset0:67 offset1:186
	v_add_u32_e32 v4, 0x1000, v198
	ds_read2_b64 v[88:91], v4 offset0:32 offset1:151
	v_add_u32_e32 v4, 0x1400, v198
	v_add_u32_e32 v5, 0x1c00, v198
	ds_read2_b64 v[80:83], v198 offset0:102 offset1:221
	ds_read2_b64 v[92:95], v4 offset0:125 offset1:244
	;; [unrolled: 1-line block ×3, first 2 shown]
	ds_read_b64 v[110:111], v199
	ds_read_b64 v[112:113], v198 offset:9656
	v_cmp_gt_u32_e64 s[0:1], 17, v195
	s_and_saveexec_b64 s[4:5], s[0:1]
	s_cbranch_execz .LBB0_17
; %bb.16:
	v_add_u32_e32 v0, 0x600, v198
	ds_read2_b64 v[0:3], v0 offset0:12 offset1:233
	ds_read2_b64 v[32:35], v4 offset0:6 offset1:227
	v_add_u32_e32 v4, 0x2200, v198
	ds_read2_b64 v[40:43], v4 offset1:221
.LBB0_17:
	s_or_b64 exec, exec, s[4:5]
	v_add_f64 v[72:73], v[72:73], -v[12:13]
	s_mov_b32 s24, 0x5d8e7cdc
	s_mov_b32 s25, 0xbfd71e95
	v_add_f64 v[12:13], v[14:15], v[74:75]
	v_add_f64 v[148:149], v[76:77], -v[20:21]
	s_mov_b32 s22, 0x2a9d6da3
	s_mov_b32 s26, 0x370991
	;; [unrolled: 1-line block ×3, first 2 shown]
	v_mul_f64 v[174:175], v[72:73], s[24:25]
	s_mov_b32 s23, 0xbfe58eea
	s_mov_b32 s27, 0x3fedd6d0
	;; [unrolled: 1-line block ×5, first 2 shown]
	v_mul_f64 v[146:147], v[72:73], s[22:23]
	v_mul_f64 v[144:145], v[72:73], s[6:7]
	v_fma_f64 v[4:5], v[12:13], s[26:27], -v[174:175]
	v_mul_f64 v[142:143], v[72:73], s[44:45]
	v_add_f64 v[76:77], v[22:23], v[78:79]
	v_mul_f64 v[124:125], v[148:149], s[22:23]
	s_mov_b32 s18, 0x75d4884
	s_mov_b32 s4, 0x2b2883cd
	;; [unrolled: 1-line block ×12, first 2 shown]
	v_fma_f64 v[100:101], v[12:13], s[18:19], -v[146:147]
	v_fma_f64 v[102:103], v[12:13], s[4:5], -v[144:145]
	v_mul_f64 v[150:151], v[72:73], s[20:21]
	v_fma_f64 v[20:21], v[12:13], s[10:11], -v[142:143]
	v_mul_f64 v[114:115], v[148:149], s[44:45]
	v_add_f64 v[4:5], v[6:7], v[4:5]
	v_fma_f64 v[106:107], v[76:77], s[18:19], -v[124:125]
	v_mul_f64 v[140:141], v[148:149], s[34:35]
	v_mul_f64 v[156:157], v[148:149], s[28:29]
	v_add_f64 v[188:189], v[68:69], -v[8:9]
	s_mov_b32 s16, 0xc61f0d01
	s_mov_b32 s38, 0x6ed5f1bb
	;; [unrolled: 1-line block ×10, first 2 shown]
	v_fma_f64 v[104:105], v[12:13], s[16:17], -v[150:151]
	v_add_f64 v[100:101], v[6:7], v[100:101]
	v_add_f64 v[102:103], v[6:7], v[102:103]
	;; [unrolled: 1-line block ×3, first 2 shown]
	v_fma_f64 v[116:117], v[76:77], s[10:11], -v[114:115]
	v_add_f64 v[4:5], v[106:107], v[4:5]
	v_fma_f64 v[106:107], v[76:77], s[38:39], -v[140:141]
	v_fma_f64 v[8:9], v[76:77], s[30:31], -v[156:157]
	v_mul_f64 v[184:185], v[148:149], s[48:49]
	v_add_f64 v[118:119], v[10:11], v[70:71]
	v_mul_f64 v[182:183], v[188:189], s[34:35]
	v_mul_f64 v[186:187], v[188:189], s[36:37]
	s_mov_b32 s46, 0x910ea3b9
	s_mov_b32 s47, 0xbfeb34fa
	;; [unrolled: 1-line block ×4, first 2 shown]
	v_add_f64 v[104:105], v[6:7], v[104:105]
	v_add_f64 v[100:101], v[116:117], v[100:101]
	v_mul_f64 v[180:181], v[188:189], s[6:7]
	v_add_f64 v[68:69], v[106:107], v[102:103]
	v_add_f64 v[8:9], v[8:9], v[20:21]
	v_fma_f64 v[20:21], v[76:77], s[46:47], -v[184:185]
	v_fma_f64 v[106:107], v[118:119], s[38:39], -v[182:183]
	;; [unrolled: 1-line block ×3, first 2 shown]
	v_add_f64 v[120:121], v[64:65], -v[16:17]
	v_mul_f64 v[190:191], v[188:189], s[52:53]
	s_mov_b32 s37, 0x3fe58eea
	s_mov_b32 s36, s22
	;; [unrolled: 1-line block ×4, first 2 shown]
	v_fma_f64 v[102:103], v[118:119], s[4:5], -v[180:181]
	v_mul_f64 v[192:193], v[188:189], s[36:37]
	v_add_f64 v[116:117], v[18:19], v[66:67]
	v_mul_f64 v[168:169], v[120:121], s[28:29]
	v_add_f64 v[16:17], v[20:21], v[104:105]
	v_add_f64 v[20:21], v[106:107], v[100:101]
	;; [unrolled: 1-line block ×3, first 2 shown]
	v_fma_f64 v[64:65], v[118:119], s[16:17], -v[190:191]
	v_mul_f64 v[178:179], v[120:121], s[52:53]
	v_mul_f64 v[176:177], v[120:121], s[54:55]
	v_add_f64 v[68:69], v[60:61], -v[24:25]
	v_mul_f64 v[172:173], v[120:121], s[44:45]
	v_add_f64 v[4:5], v[102:103], v[4:5]
	v_fma_f64 v[102:103], v[118:119], s[18:19], -v[192:193]
	v_fma_f64 v[106:107], v[116:117], s[30:31], -v[168:169]
	v_mul_f64 v[170:171], v[120:121], s[6:7]
	v_add_f64 v[8:9], v[64:65], v[8:9]
	v_fma_f64 v[24:25], v[116:117], s[16:17], -v[178:179]
	v_fma_f64 v[60:61], v[116:117], s[26:27], -v[176:177]
	v_add_f64 v[64:65], v[26:27], v[62:63]
	v_mul_f64 v[160:161], v[68:69], s[48:49]
	v_fma_f64 v[104:105], v[116:117], s[10:11], -v[172:173]
	v_add_f64 v[16:17], v[102:103], v[16:17]
	v_add_f64 v[20:21], v[106:107], v[20:21]
	v_fma_f64 v[102:103], v[116:117], s[4:5], -v[170:171]
	v_mul_f64 v[164:165], v[68:69], s[20:21]
	v_mul_f64 v[158:159], v[68:69], s[36:37]
	;; [unrolled: 1-line block ×3, first 2 shown]
	v_add_f64 v[24:25], v[24:25], v[100:101]
	v_add_f64 v[8:9], v[60:61], v[8:9]
	v_add_f64 v[60:61], v[56:57], -v[28:29]
	v_fma_f64 v[100:101], v[64:65], s[46:47], -v[160:161]
	v_mul_f64 v[166:167], v[68:69], s[28:29]
	s_mov_b32 s49, 0xbfe0d888
	v_add_f64 v[4:5], v[104:105], v[4:5]
	v_add_f64 v[16:17], v[102:103], v[16:17]
	v_fma_f64 v[28:29], v[64:65], s[16:17], -v[164:165]
	v_fma_f64 v[102:103], v[64:65], s[18:19], -v[158:159]
	;; [unrolled: 1-line block ×3, first 2 shown]
	v_add_f64 v[56:57], v[30:31], v[58:59]
	v_mul_f64 v[138:139], v[60:61], s[34:35]
	v_mul_f64 v[134:135], v[60:61], s[52:53]
	;; [unrolled: 1-line block ×3, first 2 shown]
	v_add_f64 v[20:21], v[100:101], v[20:21]
	v_fma_f64 v[100:101], v[64:65], s[30:31], -v[166:167]
	v_add_f64 v[36:37], v[52:53], -v[36:37]
	v_mul_f64 v[162:163], v[60:61], s[48:49]
	s_mov_b32 s43, 0x3fefdd0d
	s_mov_b32 s42, s44
	s_mov_b32 s7, 0x3feca52d
	v_add_f64 v[4:5], v[28:29], v[4:5]
	v_add_f64 v[28:29], v[102:103], v[24:25]
	v_add_f64 v[8:9], v[104:105], v[8:9]
	v_fma_f64 v[102:103], v[56:57], s[38:39], -v[138:139]
	v_fma_f64 v[104:105], v[56:57], s[16:17], -v[134:135]
	;; [unrolled: 1-line block ×3, first 2 shown]
	v_mul_f64 v[154:155], v[60:61], s[42:43]
	v_add_f64 v[24:25], v[38:39], v[54:55]
	v_mul_f64 v[126:127], v[36:37], s[48:49]
	v_mul_f64 v[132:133], v[36:37], s[6:7]
	v_add_f64 v[100:101], v[100:101], v[16:17]
	v_fma_f64 v[16:17], v[56:57], s[46:47], -v[162:163]
	s_mov_b32 s51, 0x3fe9895b
	s_mov_b32 s50, s34
	v_add_f64 v[4:5], v[102:103], v[4:5]
	v_add_f64 v[20:21], v[104:105], v[20:21]
	;; [unrolled: 1-line block ×3, first 2 shown]
	v_fma_f64 v[28:29], v[56:57], s[10:11], -v[154:155]
	v_fma_f64 v[52:53], v[24:25], s[46:47], -v[126:127]
	v_fma_f64 v[104:105], v[24:25], s[4:5], -v[132:133]
	v_mul_f64 v[128:129], v[36:37], s[44:45]
	v_mul_f64 v[136:137], v[36:37], s[50:51]
	;; [unrolled: 1-line block ×3, first 2 shown]
	v_add_f64 v[106:107], v[16:17], v[8:9]
	v_add_f64 v[16:17], v[48:49], -v[44:45]
	v_add_f64 v[100:101], v[28:29], v[100:101]
	v_add_f64 v[4:5], v[52:53], v[4:5]
	;; [unrolled: 1-line block ×3, first 2 shown]
	v_fma_f64 v[200:201], v[24:25], s[10:11], -v[128:129]
	v_fma_f64 v[202:203], v[24:25], s[38:39], -v[136:137]
	;; [unrolled: 1-line block ×3, first 2 shown]
	v_add_f64 v[8:9], v[46:47], v[50:51]
	v_mul_f64 v[52:53], v[16:17], s[28:29]
	v_mul_f64 v[48:49], v[16:17], s[54:55]
	;; [unrolled: 1-line block ×5, first 2 shown]
	v_add_f64 v[102:103], v[200:201], v[102:103]
	v_add_f64 v[200:201], v[202:203], v[106:107]
	v_add_f64 v[100:101], v[204:205], v[100:101]
	v_fma_f64 v[106:107], v[8:9], s[30:31], -v[52:53]
	v_fma_f64 v[202:203], v[8:9], s[26:27], -v[48:49]
	;; [unrolled: 1-line block ×5, first 2 shown]
	s_waitcnt lgkmcnt(0)
	s_barrier
	v_add_f64 v[4:5], v[106:107], v[4:5]
	v_add_f64 v[106:107], v[202:203], v[104:105]
	;; [unrolled: 1-line block ×5, first 2 shown]
	s_and_saveexec_b64 s[40:41], s[2:3]
	s_cbranch_execz .LBB0_19
; %bb.18:
	v_add_f64 v[74:75], v[74:75], v[6:7]
	v_mul_f64 v[108:109], v[24:25], s[38:39]
	v_mul_f64 v[200:201], v[12:13], s[18:19]
	;; [unrolled: 1-line block ×7, first 2 shown]
	v_add_f64 v[74:75], v[78:79], v[74:75]
	buffer_store_dword v108, off, s[60:63], 0 offset:56 ; 4-byte Folded Spill
	s_nop 0
	buffer_store_dword v109, off, s[60:63], 0 offset:60 ; 4-byte Folded Spill
	v_mul_f64 v[108:109], v[24:25], s[26:27]
	v_mul_f64 v[78:79], v[12:13], s[26:27]
	v_add_f64 v[146:147], v[200:201], v[146:147]
	v_mul_f64 v[200:201], v[72:73], s[48:49]
	v_add_f64 v[150:151], v[204:205], v[150:151]
	;; [unrolled: 2-line block ×3, first 2 shown]
	buffer_store_dword v108, off, s[60:63], 0 offset:48 ; 4-byte Folded Spill
	s_nop 0
	buffer_store_dword v109, off, s[60:63], 0 offset:52 ; 4-byte Folded Spill
	v_mul_f64 v[108:109], v[8:9], s[30:31]
	v_mul_f64 v[74:75], v[12:13], s[10:11]
	v_add_f64 v[78:79], v[78:79], v[174:175]
	v_mul_f64 v[174:175], v[72:73], s[34:35]
	v_mul_f64 v[72:73], v[72:73], s[28:29]
	v_add_f64 v[66:67], v[66:67], v[70:71]
	v_mul_f64 v[210:211], v[76:77], s[38:39]
	buffer_store_dword v108, off, s[60:63], 0 offset:40 ; 4-byte Folded Spill
	s_nop 0
	buffer_store_dword v109, off, s[60:63], 0 offset:44 ; 4-byte Folded Spill
	v_mul_f64 v[108:109], v[8:9], s[26:27]
	v_add_f64 v[74:75], v[74:75], v[142:143]
	v_mul_f64 v[70:71], v[118:119], s[4:5]
	v_mul_f64 v[216:217], v[118:119], s[38:39]
	v_add_f64 v[62:63], v[62:63], v[66:67]
	v_mul_f64 v[220:221], v[118:119], s[16:17]
	v_mul_f64 v[222:223], v[118:119], s[18:19]
	buffer_store_dword v108, off, s[60:63], 0 offset:32 ; 4-byte Folded Spill
	s_nop 0
	buffer_store_dword v109, off, s[60:63], 0 offset:36 ; 4-byte Folded Spill
	v_mul_f64 v[108:109], v[8:9], s[46:47]
	v_add_f64 v[144:145], v[202:203], v[144:145]
	v_mul_f64 v[202:203], v[148:149], s[52:53]
	v_add_f64 v[58:59], v[58:59], v[62:63]
	v_mul_f64 v[142:143], v[148:149], s[6:7]
	v_mul_f64 v[148:149], v[148:149], s[54:55]
	v_fma_f64 v[204:205], v[12:13], s[38:39], v[174:175]
	buffer_store_dword v108, off, s[60:63], 0 offset:24 ; 4-byte Folded Spill
	s_nop 0
	buffer_store_dword v109, off, s[60:63], 0 offset:28 ; 4-byte Folded Spill
	v_fma_f64 v[174:175], v[12:13], s[38:39], -v[174:175]
	v_fma_f64 v[196:197], v[12:13], s[30:31], v[72:73]
	v_add_f64 v[54:55], v[54:55], v[58:59]
	v_add_f64 v[124:125], v[206:207], v[124:125]
	;; [unrolled: 1-line block ×5, first 2 shown]
	v_mul_f64 v[218:219], v[118:119], s[30:31]
	v_mul_f64 v[206:207], v[188:189], s[44:45]
	v_add_f64 v[114:115], v[208:209], v[114:115]
	v_add_f64 v[50:51], v[50:51], v[54:55]
	v_mul_f64 v[54:55], v[8:9], s[18:19]
	v_add_f64 v[140:141], v[210:211], v[140:141]
	v_fma_f64 v[208:209], v[76:77], s[4:5], v[142:143]
	v_fma_f64 v[142:143], v[76:77], s[4:5], -v[142:143]
	v_fma_f64 v[210:211], v[76:77], s[26:27], v[148:149]
	v_add_f64 v[70:71], v[70:71], v[180:181]
	v_add_f64 v[180:181], v[220:221], v[190:191]
	;; [unrolled: 1-line block ×3, first 2 shown]
	buffer_store_dword v54, off, s[60:63], 0 offset:16 ; 4-byte Folded Spill
	s_nop 0
	buffer_store_dword v55, off, s[60:63], 0 offset:20 ; 4-byte Folded Spill
	v_mul_f64 v[54:55], v[8:9], s[38:39]
	v_fma_f64 v[50:51], v[12:13], s[46:47], v[200:201]
	v_fma_f64 v[200:201], v[12:13], s[46:47], -v[200:201]
	v_fma_f64 v[12:13], v[12:13], s[30:31], -v[72:73]
	v_mul_f64 v[72:73], v[188:189], s[24:25]
	v_mul_f64 v[188:189], v[188:189], s[48:49]
	v_add_f64 v[38:39], v[38:39], v[46:47]
	v_add_f64 v[46:47], v[212:213], v[156:157]
	;; [unrolled: 1-line block ×3, first 2 shown]
	buffer_store_dword v54, off, s[60:63], 0 offset:8 ; 4-byte Folded Spill
	s_nop 0
	buffer_store_dword v55, off, s[60:63], 0 offset:12 ; 4-byte Folded Spill
	v_fma_f64 v[184:185], v[76:77], s[16:17], v[202:203]
	v_fma_f64 v[202:203], v[76:77], s[16:17], -v[202:203]
	v_add_f64 v[146:147], v[6:7], v[146:147]
	v_add_f64 v[144:145], v[6:7], v[144:145]
	;; [unrolled: 1-line block ×3, first 2 shown]
	v_fma_f64 v[38:39], v[76:77], s[26:27], -v[148:149]
	v_add_f64 v[76:77], v[216:217], v[182:183]
	v_add_f64 v[182:183], v[222:223], v[192:193]
	;; [unrolled: 1-line block ×9, first 2 shown]
	buffer_load_dword v54, off, s[60:63], 0 offset:56 ; 4-byte Folded Reload
	buffer_load_dword v55, off, s[60:63], 0 offset:60 ; 4-byte Folded Reload
	v_mul_f64 v[224:225], v[116:117], s[10:11]
	v_mul_f64 v[66:67], v[116:117], s[16:17]
	v_add_f64 v[148:149], v[218:219], v[186:187]
	v_fma_f64 v[186:187], v[118:119], s[26:27], v[72:73]
	v_add_f64 v[18:19], v[18:19], v[26:27]
	v_add_f64 v[26:27], v[6:7], v[204:205]
	;; [unrolled: 1-line block ×4, first 2 shown]
	v_fma_f64 v[30:31], v[118:119], s[26:27], -v[72:73]
	v_fma_f64 v[72:73], v[118:119], s[10:11], v[206:207]
	v_add_f64 v[78:79], v[140:141], v[144:145]
	v_add_f64 v[50:51], v[208:209], v[50:51]
	;; [unrolled: 1-line block ×7, first 2 shown]
	v_fma_f64 v[74:75], v[118:119], s[46:47], v[188:189]
	v_mul_f64 v[226:227], v[116:117], s[30:31]
	v_mul_f64 v[228:229], v[116:117], s[26:27]
	v_add_f64 v[10:11], v[22:23], v[10:11]
	v_add_f64 v[26:27], v[184:185], v[26:27]
	;; [unrolled: 1-line block ×6, first 2 shown]
	v_fma_f64 v[76:77], v[118:119], s[46:47], -v[188:189]
	v_add_f64 v[78:79], v[224:225], v[172:173]
	v_add_f64 v[10:11], v[14:15], v[10:11]
	v_fma_f64 v[14:15], v[118:119], s[10:11], -v[206:207]
	v_add_f64 v[50:51], v[72:73], v[50:51]
	v_add_f64 v[72:73], v[74:75], v[124:125]
	;; [unrolled: 1-line block ×3, first 2 shown]
	v_mul_f64 v[74:75], v[120:121], s[48:49]
	v_mul_f64 v[230:231], v[116:117], s[4:5]
	;; [unrolled: 1-line block ×3, first 2 shown]
	v_add_f64 v[114:115], v[202:203], v[174:175]
	v_add_f64 v[46:47], v[180:181], v[46:47]
	;; [unrolled: 1-line block ×8, first 2 shown]
	v_mul_f64 v[78:79], v[120:121], s[50:51]
	v_add_f64 v[38:39], v[66:67], v[38:39]
	v_fma_f64 v[66:67], v[116:117], s[46:47], v[74:75]
	v_mul_f64 v[238:239], v[64:65], s[4:5]
	v_add_f64 v[30:31], v[30:31], v[114:115]
	v_add_f64 v[18:19], v[22:23], v[18:19]
	;; [unrolled: 1-line block ×3, first 2 shown]
	v_mul_f64 v[114:115], v[120:121], s[36:37]
	v_add_f64 v[46:47], v[76:77], v[46:47]
	v_fma_f64 v[76:77], v[116:117], s[38:39], v[78:79]
	v_fma_f64 v[78:79], v[116:117], s[38:39], -v[78:79]
	v_add_f64 v[26:27], v[66:67], v[26:27]
	v_add_f64 v[66:67], v[232:233], v[164:165]
	v_mul_f64 v[234:235], v[64:65], s[46:47]
	v_mul_f64 v[236:237], v[64:65], s[18:19]
	;; [unrolled: 1-line block ×3, first 2 shown]
	v_fma_f64 v[74:75], v[116:117], s[46:47], -v[74:75]
	v_add_f64 v[22:23], v[22:23], v[70:71]
	v_fma_f64 v[70:71], v[116:117], s[18:19], v[114:115]
	v_add_f64 v[14:15], v[78:79], v[14:15]
	v_add_f64 v[12:13], v[66:67], v[12:13]
	;; [unrolled: 1-line block ×3, first 2 shown]
	v_mul_f64 v[78:79], v[68:69], s[24:25]
	v_mul_f64 v[240:241], v[56:57], s[38:39]
	;; [unrolled: 1-line block ×3, first 2 shown]
	v_fma_f64 v[114:115], v[116:117], s[18:19], -v[114:115]
	v_add_f64 v[30:31], v[74:75], v[30:31]
	v_add_f64 v[50:51], v[76:77], v[50:51]
	;; [unrolled: 1-line block ×5, first 2 shown]
	v_mul_f64 v[76:77], v[68:69], s[42:43]
	v_add_f64 v[62:63], v[62:63], v[166:167]
	v_mul_f64 v[68:69], v[68:69], s[34:35]
	v_add_f64 v[46:47], v[66:67], v[46:47]
	v_fma_f64 v[66:67], v[64:65], s[26:27], v[78:79]
	v_mul_f64 v[244:245], v[56:57], s[26:27]
	v_mul_f64 v[246:247], v[56:57], s[46:47]
	;; [unrolled: 1-line block ×3, first 2 shown]
	v_add_f64 v[6:7], v[114:115], v[6:7]
	v_add_f64 v[18:19], v[74:75], v[18:19]
	;; [unrolled: 1-line block ×3, first 2 shown]
	v_fma_f64 v[72:73], v[64:65], s[10:11], v[76:77]
	v_fma_f64 v[74:75], v[64:65], s[10:11], -v[76:77]
	v_fma_f64 v[76:77], v[64:65], s[26:27], -v[78:79]
	v_add_f64 v[22:23], v[62:63], v[22:23]
	v_fma_f64 v[62:63], v[64:65], s[38:39], v[68:69]
	v_fma_f64 v[64:65], v[64:65], s[38:39], -v[68:69]
	v_add_f64 v[68:69], v[240:241], v[138:139]
	v_add_f64 v[50:51], v[66:67], v[50:51]
	;; [unrolled: 1-line block ×3, first 2 shown]
	v_mul_f64 v[250:251], v[24:25], s[46:47]
	v_add_f64 v[26:27], v[72:73], v[26:27]
	v_mul_f64 v[72:73], v[60:61], s[28:29]
	v_add_f64 v[62:63], v[62:63], v[70:71]
	v_add_f64 v[6:7], v[64:65], v[6:7]
	v_mul_f64 v[64:65], v[60:61], s[22:23]
	v_add_f64 v[70:71], v[244:245], v[122:123]
	v_add_f64 v[12:13], v[68:69], v[12:13]
	;; [unrolled: 1-line block ×5, first 2 shown]
	v_mul_f64 v[60:61], v[60:61], s[6:7]
	v_add_f64 v[30:31], v[74:75], v[30:31]
	v_fma_f64 v[74:75], v[56:57], s[18:19], v[64:65]
	v_add_f64 v[38:39], v[70:71], v[38:39]
	v_fma_f64 v[64:65], v[56:57], s[18:19], -v[64:65]
	v_add_f64 v[46:47], v[68:69], v[46:47]
	v_fma_f64 v[68:69], v[56:57], s[30:31], v[72:73]
	v_fma_f64 v[70:71], v[56:57], s[30:31], -v[72:73]
	v_add_f64 v[22:23], v[66:67], v[22:23]
	v_fma_f64 v[66:67], v[56:57], s[4:5], v[60:61]
	v_fma_f64 v[56:57], v[56:57], s[4:5], -v[60:61]
	v_add_f64 v[60:61], v[250:251], v[126:127]
	v_mul_f64 v[58:59], v[24:25], s[4:5]
	v_mul_f64 v[252:253], v[24:25], s[10:11]
	v_add_f64 v[30:31], v[64:65], v[30:31]
	v_mul_f64 v[64:65], v[36:37], s[28:29]
	v_add_f64 v[50:51], v[68:69], v[50:51]
	v_add_f64 v[62:63], v[66:67], v[62:63]
	;; [unrolled: 1-line block ×4, first 2 shown]
	s_waitcnt vmcnt(0)
	v_add_f64 v[60:61], v[54:55], v[136:137]
	buffer_load_dword v54, off, s[60:63], 0 offset:48 ; 4-byte Folded Reload
	buffer_load_dword v55, off, s[60:63], 0 offset:52 ; 4-byte Folded Reload
	v_add_f64 v[58:59], v[58:59], v[132:133]
	v_add_f64 v[56:57], v[252:253], v[128:129]
	v_mul_f64 v[66:67], v[36:37], s[36:37]
	v_mul_f64 v[36:37], v[36:37], s[20:21]
	v_fma_f64 v[68:69], v[24:25], s[30:31], v[64:65]
	v_add_f64 v[14:15], v[76:77], v[14:15]
	v_add_f64 v[46:47], v[60:61], v[46:47]
	;; [unrolled: 1-line block ×5, first 2 shown]
	v_fma_f64 v[56:57], v[24:25], s[30:31], -v[64:65]
	v_fma_f64 v[60:61], v[24:25], s[18:19], v[66:67]
	v_fma_f64 v[64:65], v[24:25], s[18:19], -v[66:67]
	v_add_f64 v[14:15], v[70:71], v[14:15]
	v_add_f64 v[26:27], v[68:69], v[26:27]
	;; [unrolled: 1-line block ×5, first 2 shown]
	s_waitcnt vmcnt(0)
	v_add_f64 v[58:59], v[54:55], v[130:131]
	v_add_f64 v[22:23], v[58:59], v[22:23]
	v_fma_f64 v[58:59], v[24:25], s[16:17], v[36:37]
	v_fma_f64 v[24:25], v[24:25], s[16:17], -v[36:37]
	buffer_load_dword v36, off, s[60:63], 0 offset:40 ; 4-byte Folded Reload
	buffer_load_dword v37, off, s[60:63], 0 offset:44 ; 4-byte Folded Reload
	v_add_f64 v[6:7], v[24:25], v[6:7]
	v_mul_f64 v[24:25], v[16:17], s[6:7]
	s_waitcnt vmcnt(0)
	v_add_f64 v[36:37], v[36:37], v[52:53]
	buffer_load_dword v52, off, s[60:63], 0 offset:32 ; 4-byte Folded Reload
	buffer_load_dword v53, off, s[60:63], 0 offset:36 ; 4-byte Folded Reload
	v_add_f64 v[12:13], v[36:37], v[12:13]
	v_mul_f64 v[36:37], v[16:17], s[20:21]
	v_mul_f64 v[16:17], v[16:17], s[42:43]
	v_fma_f64 v[54:55], v[8:9], s[10:11], v[16:17]
	v_fma_f64 v[16:17], v[8:9], s[10:11], -v[16:17]
	v_add_f64 v[6:7], v[16:17], v[6:7]
	s_waitcnt vmcnt(0)
	v_add_f64 v[48:49], v[52:53], v[48:49]
	buffer_load_dword v52, off, s[60:63], 0 offset:24 ; 4-byte Folded Reload
	buffer_load_dword v53, off, s[60:63], 0 offset:28 ; 4-byte Folded Reload
	v_add_f64 v[18:19], v[48:49], v[18:19]
	v_fma_f64 v[48:49], v[8:9], s[16:17], v[36:37]
	s_waitcnt vmcnt(0)
	v_add_f64 v[44:45], v[52:53], v[44:45]
	v_add_f64 v[52:53], v[58:59], v[62:63]
	v_add_f64 v[38:39], v[44:45], v[38:39]
	buffer_load_dword v44, off, s[60:63], 0 offset:16 ; 4-byte Folded Reload
	buffer_load_dword v45, off, s[60:63], 0 offset:20 ; 4-byte Folded Reload
	s_waitcnt vmcnt(0)
	v_add_f64 v[20:21], v[44:45], v[20:21]
	buffer_load_dword v44, off, s[60:63], 0 offset:8 ; 4-byte Folded Reload
	buffer_load_dword v45, off, s[60:63], 0 offset:12 ; 4-byte Folded Reload
	v_add_f64 v[20:21], v[20:21], v[46:47]
	s_waitcnt vmcnt(0)
	v_add_f64 v[28:29], v[44:45], v[28:29]
	v_fma_f64 v[44:45], v[8:9], s[4:5], v[24:25]
	v_fma_f64 v[24:25], v[8:9], s[4:5], -v[24:25]
	v_fma_f64 v[8:9], v[8:9], s[16:17], -v[36:37]
	v_add_f64 v[22:23], v[28:29], v[22:23]
	v_add_f64 v[26:27], v[44:45], v[26:27]
	;; [unrolled: 1-line block ×6, first 2 shown]
	v_lshlrev_b32_e32 v14, 7, v195
	v_add3_u32 v14, v255, v14, v254
	ds_write2_b64 v14, v[10:11], v[12:13] offset1:1
	ds_write2_b64 v14, v[18:19], v[38:39] offset0:2 offset1:3
	ds_write2_b64 v14, v[20:21], v[22:23] offset0:4 offset1:5
	;; [unrolled: 1-line block ×7, first 2 shown]
	ds_write_b64 v14, v[4:5] offset:128
.LBB0_19:
	s_or_b64 exec, exec, s[40:41]
	v_add_u32_e32 v6, 0x800, v198
	s_waitcnt lgkmcnt(0)
	s_barrier
	ds_read2_b64 v[12:15], v6 offset0:67 offset1:186
	v_add_u32_e32 v6, 0x1000, v198
	ds_read2_b64 v[16:19], v6 offset0:32 offset1:151
	v_add_u32_e32 v6, 0x1400, v198
	v_add_u32_e32 v7, 0x1c00, v198
	ds_read2_b64 v[8:11], v198 offset0:102 offset1:221
	ds_read2_b64 v[20:23], v6 offset0:125 offset1:244
	;; [unrolled: 1-line block ×3, first 2 shown]
	ds_read_b64 v[28:29], v199
	ds_read_b64 v[30:31], v198 offset:9656
	s_and_saveexec_b64 s[2:3], s[0:1]
	s_cbranch_execz .LBB0_21
; %bb.20:
	v_add_u32_e32 v4, 0x600, v198
	ds_read2_b64 v[100:103], v4 offset0:12 offset1:233
	ds_read2_b64 v[104:107], v6 offset0:6 offset1:227
	v_add_u32_e32 v4, 0x2200, v198
	ds_read2_b64 v[4:7], v4 offset1:221
.LBB0_21:
	s_or_b64 exec, exec, s[2:3]
	s_movk_i32 s2, 0xf1
	v_mul_lo_u16_sdwa v36, v195, s2 dst_sel:DWORD dst_unused:UNUSED_PAD src0_sel:BYTE_0 src1_sel:DWORD
	v_lshrrev_b16_e32 v162, 12, v36
	v_mul_lo_u16_e32 v36, 17, v162
	v_sub_u16_e32 v163, v195, v36
	v_mov_b32_e32 v57, 5
	v_mul_u32_u24_sdwa v36, v163, v57 dst_sel:DWORD dst_unused:UNUSED_PAD src0_sel:BYTE_0 src1_sel:DWORD
	v_lshlrev_b32_e32 v62, 4, v36
	global_load_dwordx4 v[36:39], v62, s[8:9] offset:48
	global_load_dwordx4 v[44:47], v62, s[8:9] offset:32
	;; [unrolled: 1-line block ×3, first 2 shown]
	global_load_dwordx4 v[48:51], v62, s[8:9]
	global_load_dwordx4 v[58:61], v62, s[8:9] offset:64
	v_add_u16_e32 v62, 0x66, v195
	v_mul_lo_u16_sdwa v63, v62, s2 dst_sel:DWORD dst_unused:UNUSED_PAD src0_sel:BYTE_0 src1_sel:DWORD
	v_lshrrev_b16_e32 v164, 12, v63
	v_mul_lo_u16_e32 v63, 17, v164
	v_sub_u16_e32 v165, v62, v63
	v_mul_u32_u24_sdwa v57, v165, v57 dst_sel:DWORD dst_unused:UNUSED_PAD src0_sel:BYTE_0 src1_sel:DWORD
	v_add_u32_e32 v56, 0xcc, v195
	v_lshlrev_b32_e32 v57, 4, v57
	s_mov_b32 s2, 0xf0f1
	global_load_dwordx4 v[62:65], v57, s[8:9] offset:32
	global_load_dwordx4 v[66:69], v57, s[8:9] offset:16
	global_load_dwordx4 v[70:73], v57, s[8:9]
	global_load_dwordx4 v[74:77], v57, s[8:9] offset:48
	global_load_dwordx4 v[114:117], v57, s[8:9] offset:64
	v_mul_u32_u24_sdwa v57, v56, s2 dst_sel:DWORD dst_unused:UNUSED_PAD src0_sel:WORD_0 src1_sel:DWORD
	v_lshrrev_b32_e32 v57, 20, v57
	v_mul_lo_u16_e32 v57, 17, v57
	v_sub_u16_e32 v166, v56, v57
	v_mul_u32_u24_e32 v56, 5, v166
	v_lshlrev_b32_e32 v56, 4, v56
	global_load_dwordx4 v[118:121], v56, s[8:9]
	global_load_dwordx4 v[122:125], v56, s[8:9] offset:16
	global_load_dwordx4 v[126:129], v56, s[8:9] offset:32
	;; [unrolled: 1-line block ×4, first 2 shown]
	s_mov_b32 s2, 0xe8584caa
	s_mov_b32 s3, 0x3febb67a
	s_mov_b32 s5, 0xbfebb67a
	s_mov_b32 s4, s2
	s_movk_i32 s6, 0x330
	s_waitcnt vmcnt(0) lgkmcnt(0)
	s_barrier
	v_mul_f64 v[138:139], v[22:23], v[38:39]
	v_mul_f64 v[108:109], v[18:19], v[46:47]
	;; [unrolled: 1-line block ×16, first 2 shown]
	v_fma_f64 v[82:83], v[82:83], v[48:49], -v[56:57]
	v_mul_f64 v[152:153], v[102:103], v[120:121]
	v_fma_f64 v[48:49], v[10:11], v[48:49], v[50:51]
	v_fma_f64 v[50:51], v[86:87], v[52:53], -v[78:79]
	v_mul_f64 v[158:159], v[4:5], v[132:133]
	v_mul_f64 v[132:133], v[40:41], v[132:133]
	v_fma_f64 v[56:57], v[14:15], v[52:53], v[54:55]
	v_fma_f64 v[78:79], v[90:91], v[44:45], -v[108:109]
	v_fma_f64 v[52:53], v[18:19], v[44:45], v[46:47]
	v_fma_f64 v[86:87], v[98:99], v[58:59], -v[140:141]
	v_fma_f64 v[44:45], v[26:27], v[58:59], v[60:61]
	v_mul_f64 v[142:143], v[12:13], v[72:73]
	v_mul_f64 v[72:73], v[84:85], v[72:73]
	;; [unrolled: 1-line block ×5, first 2 shown]
	v_fma_f64 v[54:55], v[94:95], v[36:37], -v[138:139]
	v_fma_f64 v[46:47], v[16:17], v[66:67], v[68:69]
	v_fma_f64 v[60:61], v[92:93], v[62:63], -v[146:147]
	v_fma_f64 v[16:17], v[20:21], v[62:63], v[64:65]
	;; [unrolled: 2-line block ×4, first 2 shown]
	v_add_f64 v[2:3], v[52:53], v[44:45]
	v_add_f64 v[4:5], v[78:79], v[86:87]
	v_mul_f64 v[156:157], v[106:107], v[128:129]
	v_mul_f64 v[160:161], v[6:7], v[136:137]
	;; [unrolled: 1-line block ×3, first 2 shown]
	v_fma_f64 v[18:19], v[22:23], v[36:37], v[38:39]
	v_fma_f64 v[58:59], v[84:85], v[70:71], -v[142:143]
	v_fma_f64 v[14:15], v[12:13], v[70:71], v[72:73]
	v_fma_f64 v[20:21], v[96:97], v[74:75], -v[148:149]
	v_fma_f64 v[12:13], v[24:25], v[74:75], v[76:77]
	v_add_f64 v[24:25], v[50:51], v[54:55]
	v_add_f64 v[70:71], v[52:53], -v[44:45]
	v_add_f64 v[72:73], v[78:79], -v[86:87]
	v_fma_f64 v[74:75], v[2:3], -0.5, v[48:49]
	v_fma_f64 v[76:77], v[4:5], -0.5, v[82:83]
	v_add_f64 v[78:79], v[82:83], v[78:79]
	v_add_f64 v[92:93], v[60:61], v[62:63]
	;; [unrolled: 1-line block ×3, first 2 shown]
	v_mul_f64 v[154:155], v[104:105], v[124:125]
	v_mul_f64 v[128:129], v[34:35], v[128:129]
	v_fma_f64 v[22:23], v[88:89], v[66:67], -v[144:145]
	v_fma_f64 v[68:69], v[34:35], v[126:127], -v[156:157]
	;; [unrolled: 1-line block ×3, first 2 shown]
	v_fma_f64 v[34:35], v[6:7], v[134:135], v[136:137]
	v_add_f64 v[6:7], v[110:111], v[50:51]
	v_add_f64 v[42:43], v[56:57], -v[18:19]
	v_add_f64 v[90:91], v[58:59], v[60:61]
	v_fma_f64 v[4:5], v[72:73], s[4:5], v[74:75]
	v_fma_f64 v[2:3], v[70:71], s[4:5], v[76:77]
	v_add_f64 v[94:95], v[16:17], -v[10:11]
	v_add_f64 v[60:61], v[60:61], -v[62:63]
	v_fma_f64 v[24:25], v[24:25], -0.5, v[110:111]
	v_add_f64 v[78:79], v[78:79], v[86:87]
	v_fma_f64 v[86:87], v[96:97], -0.5, v[14:15]
	v_fma_f64 v[58:59], v[92:93], -0.5, v[58:59]
	v_mul_f64 v[124:125], v[32:33], v[124:125]
	v_fma_f64 v[36:37], v[32:33], v[122:123], -v[154:155]
	v_fma_f64 v[32:33], v[106:107], v[126:127], v[128:129]
	v_add_f64 v[82:83], v[80:81], v[22:23]
	v_add_f64 v[84:85], v[22:23], v[20:21]
	v_fma_f64 v[76:77], v[70:71], s[2:3], v[76:77]
	v_fma_f64 v[70:71], v[72:73], s[2:3], v[74:75]
	v_mul_f64 v[72:73], v[4:5], s[2:3]
	v_mul_f64 v[74:75], v[2:3], -0.5
	v_add_f64 v[98:99], v[6:7], v[54:55]
	v_fma_f64 v[92:93], v[42:43], s[2:3], v[24:25]
	v_fma_f64 v[42:43], v[42:43], s[4:5], v[24:25]
	;; [unrolled: 1-line block ×5, first 2 shown]
	v_add_f64 v[88:89], v[46:47], -v[12:13]
	v_fma_f64 v[96:97], v[76:77], 0.5, v[72:73]
	v_fma_f64 v[102:103], v[70:71], s[2:3], v[74:75]
	v_fma_f64 v[80:81], v[84:85], -0.5, v[80:81]
	v_add_f64 v[84:85], v[98:99], v[78:79]
	v_add_f64 v[98:99], v[98:99], -v[78:79]
	v_fma_f64 v[72:73], v[94:95], s[2:3], v[58:59]
	v_fma_f64 v[74:75], v[60:61], s[2:3], v[86:87]
	v_mul_f64 v[58:59], v[24:25], s[2:3]
	v_mul_f64 v[60:61], v[6:7], -0.5
	v_add_f64 v[78:79], v[82:83], v[20:21]
	v_add_f64 v[62:63], v[90:91], v[62:63]
	v_add_f64 v[82:83], v[68:69], v[66:67]
	v_add_f64 v[90:91], v[32:33], v[34:35]
	v_fma_f64 v[38:39], v[104:105], v[122:123], v[124:125]
	v_add_f64 v[104:105], v[42:43], v[102:103]
	v_fma_f64 v[86:87], v[88:89], s[2:3], v[80:81]
	v_fma_f64 v[80:81], v[88:89], s[4:5], v[80:81]
	v_fma_f64 v[58:59], v[72:73], 0.5, v[58:59]
	v_fma_f64 v[60:61], v[74:75], s[2:3], v[60:61]
	v_add_f64 v[88:89], v[42:43], -v[102:103]
	v_fma_f64 v[42:43], v[82:83], -0.5, v[64:65]
	v_add_f64 v[82:83], v[32:33], -v[34:35]
	v_fma_f64 v[90:91], v[90:91], -0.5, v[30:31]
	v_add_f64 v[102:103], v[68:69], -v[66:67]
	v_fma_f64 v[40:41], v[40:41], v[130:131], -v[158:159]
	v_add_f64 v[94:95], v[92:93], v[96:97]
	v_add_f64 v[92:93], v[92:93], -v[96:97]
	v_add_f64 v[96:97], v[78:79], v[62:63]
	v_add_f64 v[106:107], v[86:87], v[58:59]
	;; [unrolled: 1-line block ×3, first 2 shown]
	v_add_f64 v[110:111], v[78:79], -v[62:63]
	v_add_f64 v[86:87], v[86:87], -v[58:59]
	;; [unrolled: 1-line block ×3, first 2 shown]
	v_fma_f64 v[60:61], v[82:83], s[2:3], v[42:43]
	v_fma_f64 v[42:43], v[82:83], s[4:5], v[42:43]
	;; [unrolled: 1-line block ×4, first 2 shown]
	v_mov_b32_e32 v80, 3
	v_mad_u32_u24 v78, v162, s6, 0
	v_lshlrev_b32_sdwa v79, v80, v163 dst_sel:DWORD dst_unused:UNUSED_PAD src0_sel:DWORD src1_sel:BYTE_0
	v_add3_u32 v79, v78, v79, v254
	v_mad_u32_u24 v78, v164, s6, 0
	v_lshlrev_b32_sdwa v80, v80, v165 dst_sel:DWORD dst_unused:UNUSED_PAD src0_sel:DWORD src1_sel:BYTE_0
	v_add3_u32 v80, v78, v80, v254
	v_lshlrev_b32_e32 v78, 3, v166
	ds_write2_b64 v79, v[84:85], v[94:95] offset1:17
	ds_write2_b64 v79, v[104:105], v[98:99] offset0:34 offset1:51
	ds_write2_b64 v79, v[92:93], v[88:89] offset0:68 offset1:85
	ds_write2_b64 v80, v[96:97], v[106:107] offset1:17
	ds_write2_b64 v80, v[108:109], v[110:111] offset0:34 offset1:51
	ds_write2_b64 v80, v[86:87], v[112:113] offset0:68 offset1:85
	s_and_saveexec_b64 s[6:7], s[0:1]
	s_cbranch_execz .LBB0_23
; %bb.22:
	v_add_f64 v[81:82], v[36:37], v[40:41]
	v_add_f64 v[83:84], v[38:39], -v[26:27]
	v_mul_f64 v[85:86], v[42:43], -0.5
	v_add_f64 v[87:88], v[0:1], v[36:37]
	v_add_f64 v[64:65], v[64:65], v[68:69]
	v_mul_f64 v[68:69], v[58:59], s[2:3]
	v_fma_f64 v[0:1], v[81:82], -0.5, v[0:1]
	v_fma_f64 v[81:82], v[62:63], s[2:3], v[85:86]
	v_add_f64 v[85:86], v[87:88], v[40:41]
	v_add_f64 v[64:65], v[64:65], v[66:67]
	v_fma_f64 v[66:67], v[60:61], 0.5, v[68:69]
	v_fma_f64 v[68:69], v[83:84], s[4:5], v[0:1]
	v_fma_f64 v[0:1], v[83:84], s[2:3], v[0:1]
	v_add_f64 v[83:84], v[85:86], -v[64:65]
	v_add_f64 v[64:65], v[85:86], v[64:65]
	v_add_f64 v[85:86], v[68:69], -v[81:82]
	v_add_f64 v[87:88], v[0:1], v[66:67]
	v_add_f64 v[68:69], v[68:69], v[81:82]
	v_add_f64 v[0:1], v[0:1], -v[66:67]
	v_add3_u32 v66, 0, v78, v254
	v_add_u32_e32 v67, 0x2000, v66
	v_add_u32_e32 v66, 0x2800, v66
	ds_write2_b64 v67, v[64:65], v[87:88] offset0:200 offset1:217
	ds_write2_b64 v67, v[68:69], v[83:84] offset0:234 offset1:251
	;; [unrolled: 1-line block ×3, first 2 shown]
.LBB0_23:
	s_or_b64 exec, exec, s[6:7]
	v_add_f64 v[0:1], v[56:57], v[18:19]
	v_add_f64 v[48:49], v[48:49], v[52:53]
	v_add_f64 v[50:51], v[50:51], -v[54:55]
	v_add_f64 v[54:55], v[46:47], v[12:13]
	v_add_f64 v[56:57], v[28:29], v[56:57]
	v_mul_f64 v[52:53], v[76:77], s[4:5]
	v_add_f64 v[46:47], v[8:9], v[46:47]
	v_add_f64 v[20:21], v[22:23], -v[20:21]
	v_fma_f64 v[0:1], v[0:1], -0.5, v[28:29]
	v_add_f64 v[28:29], v[48:49], v[44:45]
	v_mul_f64 v[44:45], v[70:71], -0.5
	v_add_f64 v[14:15], v[14:15], v[16:17]
	v_fma_f64 v[8:9], v[54:55], -0.5, v[8:9]
	v_mul_f64 v[22:23], v[72:73], s[4:5]
	v_add_f64 v[18:19], v[56:57], v[18:19]
	v_fma_f64 v[4:5], v[4:5], 0.5, v[52:53]
	v_fma_f64 v[16:17], v[50:51], s[4:5], v[0:1]
	v_fma_f64 v[0:1], v[50:51], s[2:3], v[0:1]
	v_mul_f64 v[50:51], v[74:75], -0.5
	v_fma_f64 v[2:3], v[2:3], s[4:5], v[44:45]
	v_fma_f64 v[44:45], v[20:21], s[4:5], v[8:9]
	;; [unrolled: 1-line block ×3, first 2 shown]
	v_add_f64 v[12:13], v[46:47], v[12:13]
	v_add_f64 v[10:11], v[14:15], v[10:11]
	v_fma_f64 v[14:15], v[24:25], 0.5, v[22:23]
	v_add_f64 v[48:49], v[18:19], v[28:29]
	v_fma_f64 v[6:7], v[6:7], s[4:5], v[50:51]
	v_add_f64 v[46:47], v[16:17], v[4:5]
	v_add_f64 v[50:51], v[0:1], v[2:3]
	v_add_f64 v[28:29], v[18:19], -v[28:29]
	v_add_f64 v[52:53], v[16:17], -v[4:5]
	s_waitcnt lgkmcnt(0)
	s_barrier
	v_add_f64 v[66:67], v[8:9], v[6:7]
	v_add_f64 v[70:71], v[8:9], -v[6:7]
	v_add_u32_e32 v8, 0xc00, v198
	ds_read_b64 v[24:25], v199
	ds_read2_b64 v[4:7], v198 offset0:102 offset1:204
	ds_read2_b64 v[16:19], v8 offset0:126 offset1:228
	v_add_u32_e32 v8, 0x1400, v198
	v_add_f64 v[54:55], v[0:1], -v[2:3]
	v_add_f64 v[56:57], v[12:13], v[10:11]
	v_add_f64 v[68:69], v[12:13], -v[10:11]
	v_add_u32_e32 v0, 0x800, v198
	ds_read2_b64 v[20:23], v8 offset0:74 offset1:176
	v_add_u32_e32 v8, 0x1800, v198
	v_add_u32_e32 v12, 0x2000, v198
	v_add_f64 v[64:65], v[44:45], v[14:15]
	v_add_f64 v[44:45], v[44:45], -v[14:15]
	ds_read2_b64 v[0:3], v0 offset0:50 offset1:152
	ds_read2_b64 v[8:11], v8 offset0:150 offset1:252
	;; [unrolled: 1-line block ×3, first 2 shown]
	s_waitcnt lgkmcnt(0)
	s_barrier
	ds_write2_b64 v79, v[48:49], v[46:47] offset1:17
	ds_write2_b64 v79, v[50:51], v[28:29] offset0:34 offset1:51
	ds_write2_b64 v79, v[52:53], v[54:55] offset0:68 offset1:85
	ds_write2_b64 v80, v[56:57], v[64:65] offset1:17
	ds_write2_b64 v80, v[66:67], v[68:69] offset0:34 offset1:51
	ds_write2_b64 v80, v[44:45], v[70:71] offset0:68 offset1:85
	s_and_saveexec_b64 s[2:3], s[0:1]
	s_cbranch_execz .LBB0_25
; %bb.24:
	v_add_f64 v[28:29], v[38:39], v[26:27]
	s_mov_b32 s0, 0xe8584caa
	s_mov_b32 s1, 0xbfebb67a
	v_add_f64 v[38:39], v[100:101], v[38:39]
	v_add_f64 v[36:37], v[36:37], -v[40:41]
	v_add_f64 v[30:31], v[30:31], v[32:33]
	v_mul_f64 v[40:41], v[60:61], s[0:1]
	v_mul_f64 v[32:33], v[62:63], -0.5
	v_fma_f64 v[28:29], v[28:29], -0.5, v[100:101]
	s_mov_b32 s5, 0x3febb67a
	s_mov_b32 s4, s0
	v_add_f64 v[26:27], v[38:39], v[26:27]
	v_add_f64 v[30:31], v[30:31], v[34:35]
	v_fma_f64 v[34:35], v[58:59], 0.5, v[40:41]
	v_fma_f64 v[32:33], v[42:43], s[0:1], v[32:33]
	v_fma_f64 v[38:39], v[36:37], s[0:1], v[28:29]
	;; [unrolled: 1-line block ×3, first 2 shown]
	v_add_f64 v[36:37], v[26:27], v[30:31]
	v_add_f64 v[26:27], v[26:27], -v[30:31]
	v_add_f64 v[30:31], v[38:39], v[34:35]
	v_add_f64 v[40:41], v[28:29], v[32:33]
	v_add_f64 v[34:35], v[38:39], -v[34:35]
	v_add_f64 v[28:29], v[28:29], -v[32:33]
	v_add3_u32 v32, 0, v78, v254
	v_add_u32_e32 v33, 0x2000, v32
	v_add_u32_e32 v32, 0x2800, v32
	ds_write2_b64 v33, v[36:37], v[30:31] offset0:200 offset1:217
	ds_write2_b64 v33, v[40:41], v[26:27] offset0:234 offset1:251
	;; [unrolled: 1-line block ×3, first 2 shown]
.LBB0_25:
	s_or_b64 exec, exec, s[2:3]
	s_waitcnt lgkmcnt(0)
	s_barrier
	s_and_saveexec_b64 s[0:1], vcc
	s_cbranch_execz .LBB0_27
; %bb.26:
	v_mul_u32_u24_e32 v26, 12, v195
	v_lshlrev_b32_e32 v26, 4, v26
	global_load_dwordx4 v[28:31], v26, s[8:9] offset:1440
	global_load_dwordx4 v[32:35], v26, s[8:9] offset:1456
	;; [unrolled: 1-line block ×12, first 2 shown]
	v_add_u32_e32 v56, 0xc00, v198
	v_add_u32_e32 v100, 0x2000, v198
	;; [unrolled: 1-line block ×5, first 2 shown]
	ds_read2_b64 v[88:91], v198 offset0:102 offset1:204
	ds_read_b64 v[26:27], v199
	ds_read2_b64 v[62:65], v56 offset0:126 offset1:228
	ds_read2_b64 v[70:73], v57 offset0:74 offset1:176
	;; [unrolled: 1-line block ×5, first 2 shown]
	s_mov_b32 s18, 0x93053d00
	s_mov_b32 s19, 0xbfef11f4
	;; [unrolled: 1-line block ×36, first 2 shown]
	s_waitcnt vmcnt(11)
	v_mul_f64 v[56:57], v[18:19], v[30:31]
	s_waitcnt lgkmcnt(4)
	v_mul_f64 v[30:31], v[64:65], v[30:31]
	s_waitcnt vmcnt(10)
	v_mul_f64 v[82:83], v[20:21], v[34:35]
	s_waitcnt lgkmcnt(3)
	v_mul_f64 v[34:35], v[70:71], v[34:35]
	s_waitcnt vmcnt(9)
	v_mul_f64 v[104:105], v[16:17], v[38:39]
	s_waitcnt vmcnt(8)
	;; [unrolled: 2-line block ×3, first 2 shown]
	v_mul_f64 v[120:121], v[0:1], v[54:55]
	s_waitcnt lgkmcnt(2)
	v_mul_f64 v[126:127], v[92:93], v[54:55]
	s_waitcnt vmcnt(3)
	v_mul_f64 v[124:125], v[6:7], v[68:69]
	s_waitcnt vmcnt(2)
	;; [unrolled: 2-line block ×4, first 2 shown]
	v_mul_f64 v[130:131], v[14:15], v[86:87]
	v_mul_f64 v[80:81], v[88:89], v[80:81]
	s_waitcnt lgkmcnt(0)
	v_mul_f64 v[86:87], v[102:103], v[86:87]
	v_fma_f64 v[56:57], v[64:65], v[28:29], v[56:57]
	v_fma_f64 v[54:55], v[18:19], v[28:29], -v[30:31]
	v_mul_f64 v[38:39], v[62:63], v[38:39]
	v_mul_f64 v[108:109], v[72:73], v[42:43]
	v_fma_f64 v[112:113], v[88:89], v[78:79], v[112:113]
	v_fma_f64 v[28:29], v[102:103], v[84:85], v[130:131]
	v_mul_f64 v[110:111], v[2:3], v[46:47]
	v_mul_f64 v[114:115], v[8:9], v[50:51]
	;; [unrolled: 1-line block ×7, first 2 shown]
	v_fma_f64 v[50:51], v[70:71], v[32:33], v[82:83]
	v_fma_f64 v[46:47], v[20:21], v[32:33], -v[34:35]
	v_fma_f64 v[82:83], v[90:91], v[66:67], v[124:125]
	v_fma_f64 v[32:33], v[100:101], v[74:75], v[128:129]
	v_fma_f64 v[90:91], v[4:5], v[78:79], -v[80:81]
	v_fma_f64 v[30:31], v[14:15], v[84:85], -v[86:87]
	v_add_f64 v[124:125], v[112:113], v[28:29]
	v_mul_f64 v[60:61], v[98:99], v[60:61]
	v_fma_f64 v[64:65], v[62:63], v[36:37], v[104:105]
	v_fma_f64 v[42:43], v[72:73], v[40:41], v[106:107]
	v_fma_f64 v[62:63], v[16:17], v[36:37], -v[38:39]
	v_fma_f64 v[38:39], v[22:23], v[40:41], -v[108:109]
	;; [unrolled: 1-line block ×3, first 2 shown]
	v_fma_f64 v[80:81], v[92:93], v[52:53], v[120:121]
	v_fma_f64 v[40:41], v[98:99], v[58:59], v[122:123]
	v_fma_f64 v[88:89], v[6:7], v[66:67], -v[68:69]
	v_fma_f64 v[34:35], v[12:13], v[74:75], -v[76:77]
	v_add_f64 v[122:123], v[82:83], v[32:33]
	v_add_f64 v[78:79], v[90:91], -v[30:31]
	v_mul_f64 v[2:3], v[124:125], s[18:19]
	v_fma_f64 v[72:73], v[94:95], v[44:45], v[110:111]
	v_fma_f64 v[36:37], v[96:97], v[48:49], v[114:115]
	v_fma_f64 v[44:45], v[8:9], v[48:49], -v[118:119]
	v_fma_f64 v[84:85], v[0:1], v[52:53], -v[126:127]
	;; [unrolled: 1-line block ×3, first 2 shown]
	v_add_f64 v[120:121], v[80:81], v[40:41]
	v_add_f64 v[76:77], v[88:89], -v[34:35]
	v_mul_f64 v[0:1], v[122:123], s[20:21]
	v_fma_f64 v[4:5], v[78:79], s[30:31], v[2:3]
	v_add_f64 v[118:119], v[72:73], v[36:37]
	v_add_f64 v[110:111], v[112:113], -v[28:29]
	v_add_f64 v[68:69], v[70:71], -v[44:45]
	;; [unrolled: 1-line block ×3, first 2 shown]
	v_mul_f64 v[6:7], v[120:121], s[6:7]
	v_add_f64 v[102:103], v[82:83], -v[32:33]
	v_fma_f64 v[8:9], v[76:77], s[24:25], v[0:1]
	v_add_f64 v[4:5], v[26:27], v[4:5]
	v_mul_f64 v[10:11], v[118:119], s[8:9]
	v_add_f64 v[92:93], v[90:91], v[30:31]
	v_add_f64 v[100:101], v[80:81], -v[40:41]
	v_add_f64 v[96:97], v[88:89], v[34:35]
	v_fma_f64 v[12:13], v[74:75], s[22:23], v[6:7]
	v_fma_f64 v[2:3], v[78:79], s[28:29], v[2:3]
	v_add_f64 v[116:117], v[64:65], v[42:43]
	v_add_f64 v[4:5], v[8:9], v[4:5]
	v_mul_f64 v[8:9], v[110:111], s[28:29]
	v_fma_f64 v[16:17], v[68:69], s[10:11], v[10:11]
	v_add_f64 v[106:107], v[72:73], -v[36:37]
	v_add_f64 v[86:87], v[84:85], v[48:49]
	v_fma_f64 v[0:1], v[76:77], s[34:35], v[0:1]
	v_add_f64 v[2:3], v[26:27], v[2:3]
	v_add_f64 v[104:105], v[56:57], v[50:51]
	;; [unrolled: 1-line block ×3, first 2 shown]
	v_mul_f64 v[12:13], v[102:103], s[34:35]
	v_fma_f64 v[18:19], v[92:93], s[18:19], v[8:9]
	v_add_f64 v[60:61], v[62:63], -v[38:39]
	v_add_f64 v[98:99], v[64:65], -v[42:43]
	v_mul_f64 v[14:15], v[116:117], s[0:1]
	v_add_f64 v[114:115], v[70:71], v[44:45]
	v_mul_f64 v[126:127], v[106:107], s[40:41]
	v_add_f64 v[4:5], v[16:17], v[4:5]
	v_mul_f64 v[16:17], v[100:101], s[26:27]
	v_fma_f64 v[108:109], v[96:97], s[20:21], v[12:13]
	v_add_f64 v[18:19], v[24:25], v[18:19]
	v_fma_f64 v[6:7], v[74:75], s[26:27], v[6:7]
	v_fma_f64 v[8:9], v[92:93], s[18:19], -v[8:9]
	v_add_f64 v[0:1], v[0:1], v[2:3]
	v_add_f64 v[52:53], v[54:55], -v[46:47]
	v_add_f64 v[94:95], v[56:57], -v[50:51]
	v_fma_f64 v[128:129], v[86:87], s[6:7], v[16:17]
	v_add_f64 v[66:67], v[62:63], v[38:39]
	v_add_f64 v[18:19], v[108:109], v[18:19]
	v_mul_f64 v[20:21], v[104:105], s[2:3]
	v_fma_f64 v[22:23], v[60:61], s[16:17], v[14:15]
	v_mul_f64 v[108:109], v[98:99], s[38:39]
	v_fma_f64 v[2:3], v[114:115], s[8:9], v[126:127]
	v_fma_f64 v[10:11], v[68:69], s[40:41], v[10:11]
	v_fma_f64 v[12:13], v[96:97], s[20:21], -v[12:13]
	v_add_f64 v[8:9], v[24:25], v[8:9]
	v_add_f64 v[18:19], v[128:129], v[18:19]
	;; [unrolled: 1-line block ×4, first 2 shown]
	v_mul_f64 v[128:129], v[94:95], s[36:37]
	v_fma_f64 v[6:7], v[66:67], s[0:1], v[108:109]
	v_fma_f64 v[14:15], v[60:61], s[38:39], v[14:15]
	v_fma_f64 v[16:17], v[86:87], s[6:7], -v[16:17]
	v_add_f64 v[8:9], v[12:13], v[8:9]
	v_add_f64 v[2:3], v[2:3], v[18:19]
	v_fma_f64 v[18:19], v[52:53], s[4:5], v[20:21]
	v_add_f64 v[0:1], v[10:11], v[0:1]
	v_add_f64 v[4:5], v[22:23], v[4:5]
	v_fma_f64 v[10:11], v[58:59], s[2:3], v[128:129]
	v_fma_f64 v[12:13], v[52:53], s[36:37], v[20:21]
	v_fma_f64 v[20:21], v[114:115], s[8:9], -v[126:127]
	v_mul_f64 v[22:23], v[124:125], s[6:7]
	v_add_f64 v[6:7], v[6:7], v[2:3]
	v_add_f64 v[8:9], v[16:17], v[8:9]
	;; [unrolled: 1-line block ×4, first 2 shown]
	v_mul_f64 v[4:5], v[110:111], s[26:27]
	v_mul_f64 v[16:17], v[122:123], s[2:3]
	;; [unrolled: 1-line block ×3, first 2 shown]
	v_fma_f64 v[18:19], v[78:79], s[22:23], v[22:23]
	v_add_f64 v[0:1], v[10:11], v[6:7]
	v_fma_f64 v[10:11], v[66:67], s[0:1], -v[108:109]
	v_add_f64 v[8:9], v[20:21], v[8:9]
	v_add_f64 v[6:7], v[12:13], v[14:15]
	v_mul_f64 v[12:13], v[102:103], s[36:37]
	v_fma_f64 v[14:15], v[92:93], s[6:7], v[4:5]
	v_fma_f64 v[20:21], v[58:59], s[2:3], -v[128:129]
	v_mul_f64 v[108:109], v[120:121], s[8:9]
	v_fma_f64 v[126:127], v[76:77], s[4:5], v[16:17]
	v_add_f64 v[18:19], v[26:27], v[18:19]
	v_add_f64 v[8:9], v[10:11], v[8:9]
	v_mul_f64 v[128:129], v[100:101], s[10:11]
	v_fma_f64 v[10:11], v[96:97], s[2:3], v[12:13]
	v_add_f64 v[14:15], v[24:25], v[14:15]
	v_fma_f64 v[22:23], v[78:79], s[26:27], v[22:23]
	v_fma_f64 v[132:133], v[74:75], s[40:41], v[108:109]
	v_mul_f64 v[134:135], v[106:107], s[30:31]
	v_add_f64 v[18:19], v[126:127], v[18:19]
	v_mul_f64 v[126:127], v[116:117], s[20:21]
	v_fma_f64 v[136:137], v[86:87], s[8:9], v[128:129]
	v_fma_f64 v[16:17], v[76:77], s[36:37], v[16:17]
	v_add_f64 v[10:11], v[10:11], v[14:15]
	v_fma_f64 v[14:15], v[68:69], s[28:29], v[130:131]
	v_add_f64 v[22:23], v[26:27], v[22:23]
	v_mul_f64 v[138:139], v[98:99], s[34:35]
	v_add_f64 v[18:19], v[132:133], v[18:19]
	v_fma_f64 v[140:141], v[114:115], s[18:19], v[134:135]
	v_mul_f64 v[132:133], v[104:105], s[0:1]
	v_fma_f64 v[108:109], v[74:75], s[10:11], v[108:109]
	v_add_f64 v[10:11], v[136:137], v[10:11]
	v_fma_f64 v[136:137], v[60:61], s[24:25], v[126:127]
	v_add_f64 v[16:17], v[16:17], v[22:23]
	;; [unrolled: 2-line block ×3, first 2 shown]
	v_mul_f64 v[18:19], v[94:95], s[38:39]
	v_fma_f64 v[4:5], v[92:93], s[6:7], -v[4:5]
	v_fma_f64 v[130:131], v[68:69], s[30:31], v[130:131]
	v_add_f64 v[10:11], v[140:141], v[10:11]
	v_fma_f64 v[140:141], v[52:53], s[16:17], v[132:133]
	v_add_f64 v[16:17], v[108:109], v[16:17]
	v_fma_f64 v[12:13], v[96:97], s[2:3], -v[12:13]
	v_add_f64 v[14:15], v[136:137], v[14:15]
	v_fma_f64 v[108:109], v[58:59], s[0:1], v[18:19]
	v_add_f64 v[136:137], v[24:25], v[4:5]
	v_add_f64 v[4:5], v[20:21], v[8:9]
	;; [unrolled: 1-line block ×3, first 2 shown]
	v_fma_f64 v[20:21], v[60:61], s[34:35], v[126:127]
	v_mul_f64 v[126:127], v[124:125], s[0:1]
	v_add_f64 v[16:17], v[130:131], v[16:17]
	v_add_f64 v[10:11], v[140:141], v[14:15]
	v_fma_f64 v[14:15], v[86:87], s[8:9], -v[128:129]
	v_add_f64 v[12:13], v[12:13], v[136:137]
	v_mul_f64 v[128:129], v[122:123], s[6:7]
	v_add_f64 v[8:9], v[108:109], v[22:23]
	v_mul_f64 v[108:109], v[110:111], s[38:39]
	v_fma_f64 v[130:131], v[78:79], s[16:17], v[126:127]
	v_fma_f64 v[22:23], v[52:53], s[38:39], v[132:133]
	v_add_f64 v[16:17], v[20:21], v[16:17]
	v_fma_f64 v[20:21], v[114:115], s[18:19], -v[134:135]
	v_add_f64 v[12:13], v[14:15], v[12:13]
	v_fma_f64 v[14:15], v[58:59], s[0:1], -v[18:19]
	v_mul_f64 v[132:133], v[102:103], s[22:23]
	v_fma_f64 v[18:19], v[92:93], s[0:1], v[108:109]
	v_fma_f64 v[134:135], v[66:67], s[20:21], -v[138:139]
	v_mul_f64 v[136:137], v[120:121], s[20:21]
	v_fma_f64 v[138:139], v[76:77], s[26:27], v[128:129]
	v_add_f64 v[130:131], v[26:27], v[130:131]
	v_add_f64 v[12:13], v[20:21], v[12:13]
	v_mul_f64 v[20:21], v[100:101], s[34:35]
	v_fma_f64 v[140:141], v[96:97], s[6:7], v[132:133]
	v_add_f64 v[18:19], v[24:25], v[18:19]
	v_mul_f64 v[142:143], v[118:119], s[2:3]
	v_fma_f64 v[126:127], v[78:79], s[38:39], v[126:127]
	v_fma_f64 v[144:145], v[74:75], s[24:25], v[136:137]
	v_add_f64 v[130:131], v[138:139], v[130:131]
	v_mul_f64 v[138:139], v[116:117], s[18:19]
	v_mul_f64 v[146:147], v[106:107], s[4:5]
	v_fma_f64 v[148:149], v[86:87], s[20:21], v[20:21]
	v_add_f64 v[18:19], v[140:141], v[18:19]
	v_fma_f64 v[128:129], v[76:77], s[22:23], v[128:129]
	v_add_f64 v[126:127], v[26:27], v[126:127]
	;; [unrolled: 2-line block ×3, first 2 shown]
	v_mul_f64 v[144:145], v[104:105], s[8:9]
	v_mul_f64 v[150:151], v[98:99], s[30:31]
	v_fma_f64 v[152:153], v[114:115], s[2:3], v[146:147]
	v_add_f64 v[18:19], v[148:149], v[18:19]
	v_fma_f64 v[136:137], v[74:75], s[34:35], v[136:137]
	v_add_f64 v[126:127], v[128:129], v[126:127]
	;; [unrolled: 2-line block ×3, first 2 shown]
	v_add_f64 v[12:13], v[134:135], v[12:13]
	v_mul_f64 v[134:135], v[94:95], s[40:41]
	v_fma_f64 v[140:141], v[66:67], s[18:19], v[150:151]
	v_add_f64 v[148:149], v[152:153], v[18:19]
	v_fma_f64 v[142:143], v[68:69], s[4:5], v[142:143]
	v_add_f64 v[126:127], v[136:137], v[126:127]
	;; [unrolled: 2-line block ×3, first 2 shown]
	v_add_f64 v[18:19], v[22:23], v[16:17]
	v_fma_f64 v[22:23], v[58:59], s[8:9], v[134:135]
	v_fma_f64 v[108:109], v[92:93], s[0:1], -v[108:109]
	v_add_f64 v[130:131], v[140:141], v[148:149]
	v_fma_f64 v[138:139], v[60:61], s[30:31], v[138:139]
	v_add_f64 v[126:127], v[142:143], v[126:127]
	v_add_f64 v[16:17], v[14:15], v[12:13]
	;; [unrolled: 1-line block ×3, first 2 shown]
	v_fma_f64 v[128:129], v[96:97], s[6:7], -v[132:133]
	v_mul_f64 v[132:133], v[124:125], s[2:3]
	v_add_f64 v[108:109], v[24:25], v[108:109]
	v_add_f64 v[12:13], v[22:23], v[130:131]
	v_mul_f64 v[130:131], v[110:111], s[4:5]
	v_add_f64 v[126:127], v[138:139], v[126:127]
	v_mul_f64 v[136:137], v[122:123], s[18:19]
	v_fma_f64 v[22:23], v[52:53], s[40:41], v[144:145]
	v_fma_f64 v[20:21], v[86:87], s[20:21], -v[20:21]
	v_fma_f64 v[138:139], v[78:79], s[36:37], v[132:133]
	v_add_f64 v[108:109], v[128:129], v[108:109]
	v_fma_f64 v[128:129], v[114:115], s[2:3], -v[146:147]
	v_mul_f64 v[140:141], v[120:121], s[0:1]
	v_mul_f64 v[142:143], v[102:103], s[28:29]
	v_fma_f64 v[144:145], v[92:93], s[2:3], v[130:131]
	v_fma_f64 v[146:147], v[76:77], s[30:31], v[136:137]
	v_mul_f64 v[148:149], v[118:119], s[20:21]
	v_add_f64 v[138:139], v[26:27], v[138:139]
	v_add_f64 v[20:21], v[20:21], v[108:109]
	v_fma_f64 v[108:109], v[66:67], s[18:19], -v[150:151]
	v_mul_f64 v[150:151], v[100:101], s[16:17]
	v_fma_f64 v[152:153], v[96:97], s[18:19], v[142:143]
	v_add_f64 v[144:145], v[24:25], v[144:145]
	v_fma_f64 v[154:155], v[74:75], s[38:39], v[140:141]
	v_fma_f64 v[132:133], v[78:79], s[4:5], v[132:133]
	v_add_f64 v[138:139], v[146:147], v[138:139]
	v_add_f64 v[20:21], v[128:129], v[20:21]
	v_mul_f64 v[146:147], v[116:117], s[8:9]
	v_mul_f64 v[156:157], v[106:107], s[34:35]
	v_fma_f64 v[128:129], v[86:87], s[0:1], v[150:151]
	v_add_f64 v[144:145], v[152:153], v[144:145]
	v_fma_f64 v[152:153], v[68:69], s[24:25], v[148:149]
	v_fma_f64 v[136:137], v[76:77], s[28:29], v[136:137]
	v_add_f64 v[138:139], v[154:155], v[138:139]
	v_add_f64 v[132:133], v[26:27], v[132:133]
	v_mul_f64 v[154:155], v[104:105], s[6:7]
	v_mul_f64 v[158:159], v[98:99], s[10:11]
	v_fma_f64 v[160:161], v[114:115], s[20:21], v[156:157]
	v_add_f64 v[128:129], v[128:129], v[144:145]
	v_fma_f64 v[144:145], v[60:61], s[40:41], v[146:147]
	v_fma_f64 v[140:141], v[74:75], s[16:17], v[140:141]
	v_add_f64 v[138:139], v[152:153], v[138:139]
	v_add_f64 v[132:133], v[136:137], v[132:133]
	v_fma_f64 v[134:135], v[58:59], s[8:9], -v[134:135]
	v_add_f64 v[20:21], v[108:109], v[20:21]
	v_mul_f64 v[108:109], v[94:95], s[26:27]
	v_fma_f64 v[152:153], v[66:67], s[8:9], v[158:159]
	v_add_f64 v[136:137], v[160:161], v[128:129]
	v_fma_f64 v[160:161], v[52:53], s[22:23], v[154:155]
	v_add_f64 v[138:139], v[144:145], v[138:139]
	v_fma_f64 v[148:149], v[68:69], s[34:35], v[148:149]
	v_fma_f64 v[130:131], v[92:93], s[2:3], -v[130:131]
	v_add_f64 v[132:133], v[140:141], v[132:133]
	v_mul_f64 v[140:141], v[124:125], s[8:9]
	v_add_f64 v[128:129], v[22:23], v[126:127]
	v_fma_f64 v[144:145], v[58:59], s[6:7], v[108:109]
	v_add_f64 v[136:137], v[152:153], v[136:137]
	v_add_f64 v[126:127], v[134:135], v[20:21]
	;; [unrolled: 1-line block ×3, first 2 shown]
	v_fma_f64 v[134:135], v[60:61], s[10:11], v[146:147]
	v_fma_f64 v[138:139], v[96:97], s[18:19], -v[142:143]
	v_add_f64 v[130:131], v[24:25], v[130:131]
	v_add_f64 v[132:133], v[148:149], v[132:133]
	v_mul_f64 v[142:143], v[122:123], s[0:1]
	v_mul_f64 v[146:147], v[110:111], s[10:11]
	v_fma_f64 v[148:149], v[78:79], s[40:41], v[140:141]
	v_fma_f64 v[140:141], v[78:79], s[10:11], v[140:141]
	v_add_f64 v[20:21], v[144:145], v[136:137]
	v_fma_f64 v[136:137], v[52:53], s[26:27], v[154:155]
	v_fma_f64 v[144:145], v[86:87], s[0:1], -v[150:151]
	v_add_f64 v[130:131], v[138:139], v[130:131]
	v_mul_f64 v[138:139], v[120:121], s[18:19]
	v_fma_f64 v[150:151], v[76:77], s[16:17], v[142:143]
	v_mul_f64 v[152:153], v[102:103], s[38:39]
	v_fma_f64 v[154:155], v[92:93], s[8:9], v[146:147]
	v_fma_f64 v[146:147], v[92:93], s[8:9], -v[146:147]
	v_fma_f64 v[142:143], v[76:77], s[38:39], v[142:143]
	v_add_f64 v[140:141], v[26:27], v[140:141]
	v_add_f64 v[132:133], v[134:135], v[132:133]
	v_fma_f64 v[134:135], v[114:115], s[20:21], -v[156:157]
	v_add_f64 v[148:149], v[26:27], v[148:149]
	v_add_f64 v[130:131], v[144:145], v[130:131]
	v_fma_f64 v[144:145], v[66:67], s[8:9], -v[158:159]
	v_mul_f64 v[156:157], v[118:119], s[6:7]
	v_fma_f64 v[158:159], v[74:75], s[30:31], v[138:139]
	v_fma_f64 v[162:163], v[96:97], s[0:1], v[152:153]
	v_fma_f64 v[152:153], v[96:97], s[0:1], -v[152:153]
	v_add_f64 v[146:147], v[24:25], v[146:147]
	v_fma_f64 v[138:139], v[74:75], s[28:29], v[138:139]
	v_add_f64 v[140:141], v[142:143], v[140:141]
	v_add_f64 v[148:149], v[150:151], v[148:149]
	;; [unrolled: 1-line block ×3, first 2 shown]
	v_mul_f64 v[134:135], v[116:117], s[2:3]
	v_add_f64 v[112:113], v[26:27], v[112:113]
	v_mul_f64 v[160:161], v[100:101], s[28:29]
	v_add_f64 v[146:147], v[152:153], v[146:147]
	v_fma_f64 v[152:153], v[68:69], s[22:23], v[156:157]
	v_add_f64 v[138:139], v[138:139], v[140:141]
	v_add_f64 v[148:149], v[158:159], v[148:149]
	;; [unrolled: 1-line block ×3, first 2 shown]
	v_fma_f64 v[158:159], v[60:61], s[4:5], v[134:135]
	v_fma_f64 v[134:135], v[60:61], s[36:37], v[134:135]
	v_add_f64 v[82:83], v[82:83], v[112:113]
	v_mul_f64 v[164:165], v[106:107], s[22:23]
	v_fma_f64 v[166:167], v[86:87], s[18:19], v[160:161]
	v_add_f64 v[138:139], v[152:153], v[138:139]
	v_add_f64 v[130:131], v[144:145], v[130:131]
	v_add_f64 v[154:155], v[162:163], v[154:155]
	v_mul_f64 v[144:145], v[98:99], s[36:37]
	v_mul_f64 v[124:125], v[124:125], s[20:21]
	;; [unrolled: 1-line block ×3, first 2 shown]
	v_fma_f64 v[162:163], v[114:115], s[6:7], v[164:165]
	v_add_f64 v[90:91], v[24:25], v[90:91]
	v_add_f64 v[134:135], v[134:135], v[138:139]
	;; [unrolled: 1-line block ×4, first 2 shown]
	v_fma_f64 v[166:167], v[66:67], s[2:3], v[144:145]
	v_mul_f64 v[120:121], v[120:121], s[2:3]
	v_fma_f64 v[150:151], v[68:69], s[26:27], v[156:157]
	v_fma_f64 v[142:143], v[86:87], s[18:19], -v[160:161]
	v_add_f64 v[88:89], v[88:89], v[90:91]
	v_mul_f64 v[118:119], v[118:119], s[0:1]
	v_add_f64 v[138:139], v[72:73], v[138:139]
	v_add_f64 v[154:155], v[162:163], v[154:155]
	v_fma_f64 v[162:163], v[78:79], s[34:35], v[124:125]
	v_fma_f64 v[156:157], v[74:75], s[36:37], v[120:121]
	v_fma_f64 v[140:141], v[114:115], s[6:7], -v[164:165]
	v_add_f64 v[142:143], v[142:143], v[146:147]
	v_add_f64 v[84:85], v[84:85], v[88:89]
	v_mul_f64 v[116:117], v[116:117], s[6:7]
	v_add_f64 v[64:65], v[64:65], v[138:139]
	v_add_f64 v[154:155], v[166:167], v[154:155]
	v_fma_f64 v[166:167], v[76:77], s[40:41], v[122:123]
	v_add_f64 v[162:163], v[26:27], v[162:163]
	v_fma_f64 v[146:147], v[68:69], s[16:17], v[118:119]
	v_add_f64 v[132:133], v[136:137], v[132:133]
	v_add_f64 v[84:85], v[70:71], v[84:85]
	v_mul_f64 v[136:137], v[104:105], s[20:21]
	v_add_f64 v[56:57], v[56:57], v[64:65]
	v_add_f64 v[112:113], v[140:141], v[142:143]
	v_mul_f64 v[104:105], v[104:105], s[18:19]
	v_add_f64 v[160:161], v[166:167], v[162:163]
	v_fma_f64 v[90:91], v[60:61], s[22:23], v[116:117]
	v_fma_f64 v[108:109], v[58:59], s[6:7], -v[108:109]
	v_add_f64 v[62:63], v[62:63], v[84:85]
	v_mul_f64 v[110:111], v[110:111], s[24:25]
	v_add_f64 v[50:51], v[50:51], v[56:57]
	v_fma_f64 v[78:79], v[78:79], s[24:25], v[124:125]
	v_fma_f64 v[88:89], v[52:53], s[30:31], v[104:105]
	v_add_f64 v[156:157], v[156:157], v[160:161]
	v_mul_f64 v[100:101], v[100:101], s[4:5]
	v_add_f64 v[130:131], v[108:109], v[130:131]
	v_add_f64 v[54:55], v[54:55], v[62:63]
	v_mul_f64 v[108:109], v[94:95], s[34:35]
	v_add_f64 v[42:43], v[42:43], v[50:51]
	v_fma_f64 v[62:63], v[76:77], s[10:11], v[122:123]
	v_add_f64 v[26:27], v[26:27], v[78:79]
	v_add_f64 v[140:141], v[146:147], v[156:157]
	v_mul_f64 v[84:85], v[106:107], s[38:39]
	v_fma_f64 v[56:57], v[86:87], s[2:3], v[100:101]
	v_add_f64 v[46:47], v[46:47], v[54:55]
	v_fma_f64 v[54:55], v[74:75], s[4:5], v[120:121]
	v_add_f64 v[36:37], v[36:37], v[42:43]
	v_add_f64 v[148:149], v[150:151], v[148:149]
	;; [unrolled: 1-line block ×4, first 2 shown]
	v_fma_f64 v[62:63], v[86:87], s[2:3], -v[100:101]
	v_fma_f64 v[50:51], v[114:115], s[0:1], v[84:85]
	v_add_f64 v[38:39], v[38:39], v[46:47]
	v_fma_f64 v[46:47], v[68:69], s[38:39], v[118:119]
	v_add_f64 v[36:37], v[40:41], v[36:37]
	v_fma_f64 v[144:145], v[66:67], s[2:3], -v[144:145]
	v_add_f64 v[26:27], v[54:55], v[26:27]
	v_add_f64 v[88:89], v[88:89], v[90:91]
	v_mul_f64 v[90:91], v[94:95], s[28:29]
	v_mul_f64 v[94:95], v[98:99], s[26:27]
	;; [unrolled: 1-line block ×3, first 2 shown]
	v_fma_f64 v[102:103], v[92:93], s[20:21], v[110:111]
	v_add_f64 v[32:33], v[32:33], v[36:37]
	v_fma_f64 v[92:93], v[92:93], s[20:21], -v[110:111]
	v_add_f64 v[38:39], v[44:45], v[38:39]
	v_fma_f64 v[54:55], v[114:115], s[0:1], -v[84:85]
	v_fma_f64 v[44:45], v[60:61], s[26:27], v[116:117]
	v_add_f64 v[26:27], v[46:47], v[26:27]
	v_fma_f64 v[76:77], v[96:97], s[8:9], -v[98:99]
	v_add_f64 v[102:103], v[24:25], v[102:103]
	v_add_f64 v[32:33], v[28:29], v[32:33]
	buffer_load_dword v28, off, s[60:63], 0 ; 4-byte Folded Reload
	buffer_load_dword v29, off, s[60:63], 0 offset:4 ; 4-byte Folded Reload
	v_add_f64 v[24:25], v[24:25], v[92:93]
	v_fma_f64 v[64:65], v[96:97], s[8:9], v[98:99]
	v_add_f64 v[38:39], v[48:49], v[38:39]
	v_fma_f64 v[46:47], v[66:67], s[6:7], -v[94:95]
	v_fma_f64 v[42:43], v[66:67], s[6:7], v[94:95]
	v_mad_u64_u32 v[36:37], s[0:1], s12, v194, 0
	v_fma_f64 v[48:49], v[52:53], s[28:29], v[104:105]
	v_add_f64 v[24:25], v[76:77], v[24:25]
	v_add_f64 v[64:65], v[64:65], v[102:103]
	;; [unrolled: 1-line block ×3, first 2 shown]
	v_mad_u64_u32 v[37:38], s[0:1], s13, v194, v[37:38]
	v_add_f64 v[26:27], v[44:45], v[26:27]
	v_fma_f64 v[44:45], v[58:59], s[18:19], -v[90:91]
	v_fma_f64 v[40:41], v[58:59], s[18:19], v[90:91]
	v_add_f64 v[24:25], v[62:63], v[24:25]
	v_add_f64 v[56:57], v[56:57], v[64:65]
	;; [unrolled: 1-line block ×3, first 2 shown]
	v_mov_b32_e32 v34, s15
	v_fma_f64 v[150:151], v[52:53], s[24:25], v[136:137]
	v_add_f64 v[26:27], v[48:49], v[26:27]
	v_add_f64 v[148:149], v[158:159], v[148:149]
	v_fma_f64 v[158:159], v[58:59], s[20:21], v[108:109]
	v_add_f64 v[24:25], v[54:55], v[24:25]
	v_add_f64 v[50:51], v[50:51], v[56:57]
	v_fma_f64 v[136:137], v[52:53], s[34:35], v[136:137]
	v_fma_f64 v[108:109], v[58:59], s[20:21], -v[108:109]
	v_add_f64 v[112:113], v[144:145], v[112:113]
	v_add_f64 v[82:83], v[150:151], v[148:149]
	;; [unrolled: 1-line block ×9, first 2 shown]
	v_add_u32_e32 v40, 0xcc, v194
	s_waitcnt vmcnt(0)
	v_lshlrev_b64 v[28:29], 4, v[28:29]
	v_add_co_u32_e32 v38, vcc, s14, v28
	v_addc_co_u32_e32 v39, vcc, v34, v29, vcc
	v_lshlrev_b64 v[28:29], 4, v[36:37]
	v_add_u32_e32 v36, 0x66, v194
	v_mad_u64_u32 v[34:35], s[0:1], s12, v36, 0
	v_add_co_u32_e32 v28, vcc, v38, v28
	v_mad_u64_u32 v[35:36], s[0:1], s13, v36, v[35:36]
	v_addc_co_u32_e32 v29, vcc, v39, v29, vcc
	v_mad_u64_u32 v[36:37], s[0:1], s12, v40, 0
	global_store_dwordx4 v[28:29], v[30:33], off
	v_lshlrev_b64 v[28:29], 4, v[34:35]
	v_mov_b32_e32 v30, v37
	v_add_co_u32_e32 v28, vcc, v38, v28
	v_addc_co_u32_e32 v29, vcc, v39, v29, vcc
	global_store_dwordx4 v[28:29], v[24:27], off
	v_add_u32_e32 v28, 0x132, v194
	v_mad_u64_u32 v[30:31], s[0:1], s13, v40, v[30:31]
	v_mad_u64_u32 v[26:27], s[0:1], s12, v28, 0
	v_mov_b32_e32 v37, v30
	v_add_u32_e32 v30, 0x198, v194
	v_mad_u64_u32 v[27:28], s[0:1], s13, v28, v[27:28]
	v_lshlrev_b64 v[24:25], 4, v[36:37]
	v_mad_u64_u32 v[28:29], s[0:1], s12, v30, 0
	v_add_co_u32_e32 v24, vcc, v38, v24
	v_addc_co_u32_e32 v25, vcc, v39, v25, vcc
	global_store_dwordx4 v[24:25], v[70:73], off
	v_lshlrev_b64 v[24:25], 4, v[26:27]
	v_mov_b32_e32 v26, v29
	v_mad_u64_u32 v[26:27], s[0:1], s13, v30, v[26:27]
	v_add_co_u32_e32 v24, vcc, v38, v24
	v_addc_co_u32_e32 v25, vcc, v39, v25, vcc
	v_mov_b32_e32 v29, v26
	global_store_dwordx4 v[24:25], v[130:133], off
	v_lshlrev_b64 v[24:25], 4, v[28:29]
	v_add_u32_e32 v28, 0x1fe, v194
	v_mad_u64_u32 v[26:27], s[0:1], s12, v28, 0
	v_add_co_u32_e32 v24, vcc, v38, v24
	v_mad_u64_u32 v[27:28], s[0:1], s13, v28, v[27:28]
	v_addc_co_u32_e32 v25, vcc, v39, v25, vcc
	v_add_u32_e32 v30, 0x264, v194
	v_mad_u64_u32 v[28:29], s[0:1], s12, v30, 0
	global_store_dwordx4 v[24:25], v[126:129], off
	v_lshlrev_b64 v[24:25], 4, v[26:27]
	v_mov_b32_e32 v26, v29
	v_add_co_u32_e32 v24, vcc, v38, v24
	v_addc_co_u32_e32 v25, vcc, v39, v25, vcc
	global_store_dwordx4 v[24:25], v[16:19], off
	v_add_u32_e32 v24, 0x2ca, v194
	v_mad_u64_u32 v[26:27], s[0:1], s13, v30, v[26:27]
	v_mad_u64_u32 v[18:19], s[0:1], s12, v24, 0
	v_mov_b32_e32 v29, v26
	v_lshlrev_b64 v[16:17], 4, v[28:29]
	v_mad_u64_u32 v[24:25], s[0:1], s13, v24, v[19:20]
	v_add_co_u32_e32 v16, vcc, v38, v16
	v_addc_co_u32_e32 v17, vcc, v39, v17, vcc
	v_add_u32_e32 v27, 0x330, v194
	v_mov_b32_e32 v19, v24
	v_mad_u64_u32 v[25:26], s[0:1], s12, v27, 0
	global_store_dwordx4 v[16:17], v[4:7], off
	s_nop 0
	v_lshlrev_b64 v[4:5], 4, v[18:19]
	v_mov_b32_e32 v6, v26
	v_add_co_u32_e32 v4, vcc, v38, v4
	v_addc_co_u32_e32 v5, vcc, v39, v5, vcc
	global_store_dwordx4 v[4:5], v[0:3], off
	v_add_u32_e32 v4, 0x396, v194
	v_mad_u64_u32 v[6:7], s[0:1], s13, v27, v[6:7]
	v_mad_u64_u32 v[2:3], s[0:1], s12, v4, 0
	v_mov_b32_e32 v26, v6
	v_add_u32_e32 v6, 0x3fc, v194
	v_mad_u64_u32 v[3:4], s[0:1], s13, v4, v[3:4]
	v_lshlrev_b64 v[0:1], 4, v[25:26]
	v_mad_u64_u32 v[4:5], s[0:1], s12, v6, 0
	v_add_co_u32_e32 v0, vcc, v38, v0
	v_addc_co_u32_e32 v1, vcc, v39, v1, vcc
	global_store_dwordx4 v[0:1], v[8:11], off
	v_lshlrev_b64 v[0:1], 4, v[2:3]
	v_mov_b32_e32 v2, v5
	v_mad_u64_u32 v[2:3], s[0:1], s13, v6, v[2:3]
	v_add_co_u32_e32 v0, vcc, v38, v0
	v_addc_co_u32_e32 v1, vcc, v39, v1, vcc
	v_mov_b32_e32 v5, v2
	global_store_dwordx4 v[0:1], v[12:15], off
	v_lshlrev_b64 v[0:1], 4, v[4:5]
	v_add_u32_e32 v4, 0x462, v194
	v_mad_u64_u32 v[2:3], s[0:1], s12, v4, 0
	v_add_u32_e32 v6, 0x4c8, v194
	v_add_co_u32_e32 v0, vcc, v38, v0
	v_mad_u64_u32 v[3:4], s[0:1], s13, v4, v[3:4]
	v_mad_u64_u32 v[4:5], s[0:1], s12, v6, 0
	v_addc_co_u32_e32 v1, vcc, v39, v1, vcc
	global_store_dwordx4 v[0:1], v[20:23], off
	v_lshlrev_b64 v[0:1], 4, v[2:3]
	v_mov_b32_e32 v2, v5
	v_mad_u64_u32 v[2:3], s[0:1], s13, v6, v[2:3]
	v_add_co_u32_e32 v0, vcc, v38, v0
	v_addc_co_u32_e32 v1, vcc, v39, v1, vcc
	v_mov_b32_e32 v5, v2
	global_store_dwordx4 v[0:1], v[80:83], off
	v_lshlrev_b64 v[0:1], 4, v[4:5]
	v_add_co_u32_e32 v0, vcc, v38, v0
	v_addc_co_u32_e32 v1, vcc, v39, v1, vcc
	global_store_dwordx4 v[0:1], v[86:89], off
.LBB0_27:
	s_endpgm
	.section	.rodata,"a",@progbits
	.p2align	6, 0x0
	.amdhsa_kernel fft_rtc_fwd_len1326_factors_17_6_13_wgs_204_tpt_102_halfLds_dp_ip_CI_sbrr_dirReg
		.amdhsa_group_segment_fixed_size 0
		.amdhsa_private_segment_fixed_size 68
		.amdhsa_kernarg_size 88
		.amdhsa_user_sgpr_count 6
		.amdhsa_user_sgpr_private_segment_buffer 1
		.amdhsa_user_sgpr_dispatch_ptr 0
		.amdhsa_user_sgpr_queue_ptr 0
		.amdhsa_user_sgpr_kernarg_segment_ptr 1
		.amdhsa_user_sgpr_dispatch_id 0
		.amdhsa_user_sgpr_flat_scratch_init 0
		.amdhsa_user_sgpr_private_segment_size 0
		.amdhsa_uses_dynamic_stack 0
		.amdhsa_system_sgpr_private_segment_wavefront_offset 1
		.amdhsa_system_sgpr_workgroup_id_x 1
		.amdhsa_system_sgpr_workgroup_id_y 0
		.amdhsa_system_sgpr_workgroup_id_z 0
		.amdhsa_system_sgpr_workgroup_info 0
		.amdhsa_system_vgpr_workitem_id 0
		.amdhsa_next_free_vgpr 256
		.amdhsa_next_free_sgpr 64
		.amdhsa_reserve_vcc 1
		.amdhsa_reserve_flat_scratch 0
		.amdhsa_float_round_mode_32 0
		.amdhsa_float_round_mode_16_64 0
		.amdhsa_float_denorm_mode_32 3
		.amdhsa_float_denorm_mode_16_64 3
		.amdhsa_dx10_clamp 1
		.amdhsa_ieee_mode 1
		.amdhsa_fp16_overflow 0
		.amdhsa_exception_fp_ieee_invalid_op 0
		.amdhsa_exception_fp_denorm_src 0
		.amdhsa_exception_fp_ieee_div_zero 0
		.amdhsa_exception_fp_ieee_overflow 0
		.amdhsa_exception_fp_ieee_underflow 0
		.amdhsa_exception_fp_ieee_inexact 0
		.amdhsa_exception_int_div_zero 0
	.end_amdhsa_kernel
	.text
.Lfunc_end0:
	.size	fft_rtc_fwd_len1326_factors_17_6_13_wgs_204_tpt_102_halfLds_dp_ip_CI_sbrr_dirReg, .Lfunc_end0-fft_rtc_fwd_len1326_factors_17_6_13_wgs_204_tpt_102_halfLds_dp_ip_CI_sbrr_dirReg
                                        ; -- End function
	.section	.AMDGPU.csdata,"",@progbits
; Kernel info:
; codeLenInByte = 17344
; NumSgprs: 68
; NumVgprs: 256
; ScratchSize: 68
; MemoryBound: 1
; FloatMode: 240
; IeeeMode: 1
; LDSByteSize: 0 bytes/workgroup (compile time only)
; SGPRBlocks: 8
; VGPRBlocks: 63
; NumSGPRsForWavesPerEU: 68
; NumVGPRsForWavesPerEU: 256
; Occupancy: 1
; WaveLimiterHint : 1
; COMPUTE_PGM_RSRC2:SCRATCH_EN: 1
; COMPUTE_PGM_RSRC2:USER_SGPR: 6
; COMPUTE_PGM_RSRC2:TRAP_HANDLER: 0
; COMPUTE_PGM_RSRC2:TGID_X_EN: 1
; COMPUTE_PGM_RSRC2:TGID_Y_EN: 0
; COMPUTE_PGM_RSRC2:TGID_Z_EN: 0
; COMPUTE_PGM_RSRC2:TIDIG_COMP_CNT: 0
	.type	__hip_cuid_4c06086eb2978346,@object ; @__hip_cuid_4c06086eb2978346
	.section	.bss,"aw",@nobits
	.globl	__hip_cuid_4c06086eb2978346
__hip_cuid_4c06086eb2978346:
	.byte	0                               ; 0x0
	.size	__hip_cuid_4c06086eb2978346, 1

	.ident	"AMD clang version 19.0.0git (https://github.com/RadeonOpenCompute/llvm-project roc-6.4.0 25133 c7fe45cf4b819c5991fe208aaa96edf142730f1d)"
	.section	".note.GNU-stack","",@progbits
	.addrsig
	.addrsig_sym __hip_cuid_4c06086eb2978346
	.amdgpu_metadata
---
amdhsa.kernels:
  - .args:
      - .actual_access:  read_only
        .address_space:  global
        .offset:         0
        .size:           8
        .value_kind:     global_buffer
      - .offset:         8
        .size:           8
        .value_kind:     by_value
      - .actual_access:  read_only
        .address_space:  global
        .offset:         16
        .size:           8
        .value_kind:     global_buffer
      - .actual_access:  read_only
        .address_space:  global
        .offset:         24
        .size:           8
        .value_kind:     global_buffer
      - .offset:         32
        .size:           8
        .value_kind:     by_value
      - .actual_access:  read_only
        .address_space:  global
        .offset:         40
        .size:           8
        .value_kind:     global_buffer
      - .actual_access:  read_only
        .address_space:  global
        .offset:         48
        .size:           8
        .value_kind:     global_buffer
      - .offset:         56
        .size:           4
        .value_kind:     by_value
      - .actual_access:  read_only
        .address_space:  global
        .offset:         64
        .size:           8
        .value_kind:     global_buffer
      - .actual_access:  read_only
        .address_space:  global
        .offset:         72
        .size:           8
        .value_kind:     global_buffer
      - .address_space:  global
        .offset:         80
        .size:           8
        .value_kind:     global_buffer
    .group_segment_fixed_size: 0
    .kernarg_segment_align: 8
    .kernarg_segment_size: 88
    .language:       OpenCL C
    .language_version:
      - 2
      - 0
    .max_flat_workgroup_size: 204
    .name:           fft_rtc_fwd_len1326_factors_17_6_13_wgs_204_tpt_102_halfLds_dp_ip_CI_sbrr_dirReg
    .private_segment_fixed_size: 68
    .sgpr_count:     68
    .sgpr_spill_count: 0
    .symbol:         fft_rtc_fwd_len1326_factors_17_6_13_wgs_204_tpt_102_halfLds_dp_ip_CI_sbrr_dirReg.kd
    .uniform_work_group_size: 1
    .uses_dynamic_stack: false
    .vgpr_count:     256
    .vgpr_spill_count: 16
    .wavefront_size: 64
amdhsa.target:   amdgcn-amd-amdhsa--gfx906
amdhsa.version:
  - 1
  - 2
...

	.end_amdgpu_metadata
